;; amdgpu-corpus repo=ROCm/rocFFT kind=compiled arch=gfx1030 opt=O3
	.text
	.amdgcn_target "amdgcn-amd-amdhsa--gfx1030"
	.amdhsa_code_object_version 6
	.protected	fft_rtc_back_len480_factors_10_8_6_wgs_64_tpt_16_halfLds_dp_ip_CI_unitstride_sbrr_dirReg ; -- Begin function fft_rtc_back_len480_factors_10_8_6_wgs_64_tpt_16_halfLds_dp_ip_CI_unitstride_sbrr_dirReg
	.globl	fft_rtc_back_len480_factors_10_8_6_wgs_64_tpt_16_halfLds_dp_ip_CI_unitstride_sbrr_dirReg
	.p2align	8
	.type	fft_rtc_back_len480_factors_10_8_6_wgs_64_tpt_16_halfLds_dp_ip_CI_unitstride_sbrr_dirReg,@function
fft_rtc_back_len480_factors_10_8_6_wgs_64_tpt_16_halfLds_dp_ip_CI_unitstride_sbrr_dirReg: ; @fft_rtc_back_len480_factors_10_8_6_wgs_64_tpt_16_halfLds_dp_ip_CI_unitstride_sbrr_dirReg
; %bb.0:
	s_clause 0x2
	s_load_dwordx4 s[8:11], s[4:5], 0x0
	s_load_dwordx2 s[2:3], s[4:5], 0x50
	s_load_dwordx2 s[12:13], s[4:5], 0x18
	v_lshrrev_b32_e32 v9, 4, v0
	v_mov_b32_e32 v3, 0
	v_mov_b32_e32 v1, 0
	;; [unrolled: 1-line block ×3, first 2 shown]
	v_lshl_or_b32 v5, s6, 2, v9
	v_mov_b32_e32 v6, v3
	s_waitcnt lgkmcnt(0)
	v_cmp_lt_u64_e64 s0, s[10:11], 2
	s_and_b32 vcc_lo, exec_lo, s0
	s_cbranch_vccnz .LBB0_8
; %bb.1:
	s_load_dwordx2 s[0:1], s[4:5], 0x10
	v_mov_b32_e32 v1, 0
	s_add_u32 s6, s12, 8
	v_mov_b32_e32 v2, 0
	s_addc_u32 s7, s13, 0
	s_mov_b64 s[16:17], 1
	s_waitcnt lgkmcnt(0)
	s_add_u32 s14, s0, 8
	s_addc_u32 s15, s1, 0
.LBB0_2:                                ; =>This Inner Loop Header: Depth=1
	s_load_dwordx2 s[18:19], s[14:15], 0x0
                                        ; implicit-def: $vgpr7_vgpr8
	s_mov_b32 s0, exec_lo
	s_waitcnt lgkmcnt(0)
	v_or_b32_e32 v4, s19, v6
	v_cmpx_ne_u64_e32 0, v[3:4]
	s_xor_b32 s1, exec_lo, s0
	s_cbranch_execz .LBB0_4
; %bb.3:                                ;   in Loop: Header=BB0_2 Depth=1
	v_cvt_f32_u32_e32 v4, s18
	v_cvt_f32_u32_e32 v7, s19
	s_sub_u32 s0, 0, s18
	s_subb_u32 s20, 0, s19
	v_fmac_f32_e32 v4, 0x4f800000, v7
	v_rcp_f32_e32 v4, v4
	v_mul_f32_e32 v4, 0x5f7ffffc, v4
	v_mul_f32_e32 v7, 0x2f800000, v4
	v_trunc_f32_e32 v7, v7
	v_fmac_f32_e32 v4, 0xcf800000, v7
	v_cvt_u32_f32_e32 v7, v7
	v_cvt_u32_f32_e32 v4, v4
	v_mul_lo_u32 v8, s0, v7
	v_mul_hi_u32 v10, s0, v4
	v_mul_lo_u32 v11, s20, v4
	v_add_nc_u32_e32 v8, v10, v8
	v_mul_lo_u32 v10, s0, v4
	v_add_nc_u32_e32 v8, v8, v11
	v_mul_hi_u32 v11, v4, v10
	v_mul_lo_u32 v12, v4, v8
	v_mul_hi_u32 v13, v4, v8
	v_mul_hi_u32 v14, v7, v10
	v_mul_lo_u32 v10, v7, v10
	v_mul_hi_u32 v15, v7, v8
	v_mul_lo_u32 v8, v7, v8
	v_add_co_u32 v11, vcc_lo, v11, v12
	v_add_co_ci_u32_e32 v12, vcc_lo, 0, v13, vcc_lo
	v_add_co_u32 v10, vcc_lo, v11, v10
	v_add_co_ci_u32_e32 v10, vcc_lo, v12, v14, vcc_lo
	v_add_co_ci_u32_e32 v11, vcc_lo, 0, v15, vcc_lo
	v_add_co_u32 v8, vcc_lo, v10, v8
	v_add_co_ci_u32_e32 v10, vcc_lo, 0, v11, vcc_lo
	v_add_co_u32 v4, vcc_lo, v4, v8
	v_add_co_ci_u32_e32 v7, vcc_lo, v7, v10, vcc_lo
	v_mul_hi_u32 v8, s0, v4
	v_mul_lo_u32 v11, s20, v4
	v_mul_lo_u32 v10, s0, v7
	v_add_nc_u32_e32 v8, v8, v10
	v_mul_lo_u32 v10, s0, v4
	v_add_nc_u32_e32 v8, v8, v11
	v_mul_hi_u32 v11, v4, v10
	v_mul_lo_u32 v12, v4, v8
	v_mul_hi_u32 v13, v4, v8
	v_mul_hi_u32 v14, v7, v10
	v_mul_lo_u32 v10, v7, v10
	v_mul_hi_u32 v15, v7, v8
	v_mul_lo_u32 v8, v7, v8
	v_add_co_u32 v11, vcc_lo, v11, v12
	v_add_co_ci_u32_e32 v12, vcc_lo, 0, v13, vcc_lo
	v_add_co_u32 v10, vcc_lo, v11, v10
	v_add_co_ci_u32_e32 v10, vcc_lo, v12, v14, vcc_lo
	v_add_co_ci_u32_e32 v11, vcc_lo, 0, v15, vcc_lo
	v_add_co_u32 v8, vcc_lo, v10, v8
	v_add_co_ci_u32_e32 v10, vcc_lo, 0, v11, vcc_lo
	v_add_co_u32 v4, vcc_lo, v4, v8
	v_add_co_ci_u32_e32 v12, vcc_lo, v7, v10, vcc_lo
	v_mul_hi_u32 v14, v5, v4
	v_mad_u64_u32 v[10:11], null, v6, v4, 0
	v_mad_u64_u32 v[7:8], null, v5, v12, 0
	;; [unrolled: 1-line block ×3, first 2 shown]
	v_add_co_u32 v4, vcc_lo, v14, v7
	v_add_co_ci_u32_e32 v7, vcc_lo, 0, v8, vcc_lo
	v_add_co_u32 v4, vcc_lo, v4, v10
	v_add_co_ci_u32_e32 v4, vcc_lo, v7, v11, vcc_lo
	v_add_co_ci_u32_e32 v7, vcc_lo, 0, v13, vcc_lo
	v_add_co_u32 v4, vcc_lo, v4, v12
	v_add_co_ci_u32_e32 v10, vcc_lo, 0, v7, vcc_lo
	v_mul_lo_u32 v11, s19, v4
	v_mad_u64_u32 v[7:8], null, s18, v4, 0
	v_mul_lo_u32 v12, s18, v10
	v_sub_co_u32 v7, vcc_lo, v5, v7
	v_add3_u32 v8, v8, v12, v11
	v_sub_nc_u32_e32 v11, v6, v8
	v_subrev_co_ci_u32_e64 v11, s0, s19, v11, vcc_lo
	v_add_co_u32 v12, s0, v4, 2
	v_add_co_ci_u32_e64 v13, s0, 0, v10, s0
	v_sub_co_u32 v14, s0, v7, s18
	v_sub_co_ci_u32_e32 v8, vcc_lo, v6, v8, vcc_lo
	v_subrev_co_ci_u32_e64 v11, s0, 0, v11, s0
	v_cmp_le_u32_e32 vcc_lo, s18, v14
	v_cmp_eq_u32_e64 s0, s19, v8
	v_cndmask_b32_e64 v14, 0, -1, vcc_lo
	v_cmp_le_u32_e32 vcc_lo, s19, v11
	v_cndmask_b32_e64 v15, 0, -1, vcc_lo
	v_cmp_le_u32_e32 vcc_lo, s18, v7
	;; [unrolled: 2-line block ×3, first 2 shown]
	v_cndmask_b32_e64 v16, 0, -1, vcc_lo
	v_cmp_eq_u32_e32 vcc_lo, s19, v11
	v_cndmask_b32_e64 v7, v16, v7, s0
	v_cndmask_b32_e32 v11, v15, v14, vcc_lo
	v_add_co_u32 v14, vcc_lo, v4, 1
	v_add_co_ci_u32_e32 v15, vcc_lo, 0, v10, vcc_lo
	v_cmp_ne_u32_e32 vcc_lo, 0, v11
	v_cndmask_b32_e32 v8, v15, v13, vcc_lo
	v_cndmask_b32_e32 v11, v14, v12, vcc_lo
	v_cmp_ne_u32_e32 vcc_lo, 0, v7
	v_cndmask_b32_e32 v8, v10, v8, vcc_lo
	v_cndmask_b32_e32 v7, v4, v11, vcc_lo
.LBB0_4:                                ;   in Loop: Header=BB0_2 Depth=1
	s_andn2_saveexec_b32 s0, s1
	s_cbranch_execz .LBB0_6
; %bb.5:                                ;   in Loop: Header=BB0_2 Depth=1
	v_cvt_f32_u32_e32 v4, s18
	s_sub_i32 s1, 0, s18
	v_rcp_iflag_f32_e32 v4, v4
	v_mul_f32_e32 v4, 0x4f7ffffe, v4
	v_cvt_u32_f32_e32 v4, v4
	v_mul_lo_u32 v7, s1, v4
	v_mul_hi_u32 v7, v4, v7
	v_add_nc_u32_e32 v4, v4, v7
	v_mul_hi_u32 v4, v5, v4
	v_mul_lo_u32 v7, v4, s18
	v_add_nc_u32_e32 v8, 1, v4
	v_sub_nc_u32_e32 v7, v5, v7
	v_subrev_nc_u32_e32 v10, s18, v7
	v_cmp_le_u32_e32 vcc_lo, s18, v7
	v_cndmask_b32_e32 v7, v7, v10, vcc_lo
	v_cndmask_b32_e32 v4, v4, v8, vcc_lo
	v_cmp_le_u32_e32 vcc_lo, s18, v7
	v_add_nc_u32_e32 v8, 1, v4
	v_cndmask_b32_e32 v7, v4, v8, vcc_lo
	v_mov_b32_e32 v8, v3
.LBB0_6:                                ;   in Loop: Header=BB0_2 Depth=1
	s_or_b32 exec_lo, exec_lo, s0
	s_load_dwordx2 s[0:1], s[6:7], 0x0
	v_mul_lo_u32 v4, v8, s18
	v_mul_lo_u32 v12, v7, s19
	v_mad_u64_u32 v[10:11], null, v7, s18, 0
	s_add_u32 s16, s16, 1
	s_addc_u32 s17, s17, 0
	s_add_u32 s6, s6, 8
	s_addc_u32 s7, s7, 0
	;; [unrolled: 2-line block ×3, first 2 shown]
	v_add3_u32 v4, v11, v12, v4
	v_sub_co_u32 v5, vcc_lo, v5, v10
	v_sub_co_ci_u32_e32 v4, vcc_lo, v6, v4, vcc_lo
	s_waitcnt lgkmcnt(0)
	v_mul_lo_u32 v6, s1, v5
	v_mul_lo_u32 v4, s0, v4
	v_mad_u64_u32 v[1:2], null, s0, v5, v[1:2]
	v_cmp_ge_u64_e64 s0, s[16:17], s[10:11]
	s_and_b32 vcc_lo, exec_lo, s0
	v_add3_u32 v2, v6, v2, v4
	s_cbranch_vccnz .LBB0_9
; %bb.7:                                ;   in Loop: Header=BB0_2 Depth=1
	v_mov_b32_e32 v5, v7
	v_mov_b32_e32 v6, v8
	s_branch .LBB0_2
.LBB0_8:
	v_mov_b32_e32 v8, v6
	v_mov_b32_e32 v7, v5
.LBB0_9:
	s_lshl_b64 s[0:1], s[10:11], 3
	v_and_b32_e32 v208, 15, v0
	s_add_u32 s0, s12, s0
	s_addc_u32 s1, s13, s1
	s_load_dwordx2 s[0:1], s[0:1], 0x0
	s_load_dwordx2 s[4:5], s[4:5], 0x20
	v_or_b32_e32 v205, 16, v208
	v_or_b32_e32 v206, 32, v208
	;; [unrolled: 1-line block ×3, first 2 shown]
	s_waitcnt lgkmcnt(0)
	v_mul_lo_u32 v3, s0, v8
	v_mul_lo_u32 v4, s1, v7
	v_mad_u64_u32 v[0:1], null, s0, v7, v[1:2]
	v_cmp_gt_u64_e32 vcc_lo, s[4:5], v[7:8]
	v_cmp_le_u64_e64 s0, s[4:5], v[7:8]
	v_add3_u32 v1, v4, v1, v3
	s_and_saveexec_b32 s1, s0
	s_xor_b32 s0, exec_lo, s1
; %bb.10:
	v_or_b32_e32 v205, 16, v208
	v_or_b32_e32 v206, 32, v208
	;; [unrolled: 1-line block ×3, first 2 shown]
; %bb.11:
	s_or_saveexec_b32 s1, s0
	v_lshlrev_b64 v[166:167], 4, v[0:1]
	v_lshlrev_b32_e32 v204, 4, v208
                                        ; implicit-def: $vgpr156_vgpr157
                                        ; implicit-def: $vgpr46_vgpr47
                                        ; implicit-def: $vgpr22_vgpr23
                                        ; implicit-def: $vgpr18_vgpr19
                                        ; implicit-def: $vgpr30_vgpr31
                                        ; implicit-def: $vgpr144_vgpr145
                                        ; implicit-def: $vgpr148_vgpr149
                                        ; implicit-def: $vgpr50_vgpr51
                                        ; implicit-def: $vgpr42_vgpr43
                                        ; implicit-def: $vgpr68_vgpr69
                                        ; implicit-def: $vgpr118_vgpr119
                                        ; implicit-def: $vgpr136_vgpr137
                                        ; implicit-def: $vgpr108_vgpr109
                                        ; implicit-def: $vgpr90_vgpr91
                                        ; implicit-def: $vgpr76_vgpr77
                                        ; implicit-def: $vgpr72_vgpr73
                                        ; implicit-def: $vgpr98_vgpr99
                                        ; implicit-def: $vgpr112_vgpr113
                                        ; implicit-def: $vgpr128_vgpr129
                                        ; implicit-def: $vgpr124_vgpr125
                                        ; implicit-def: $vgpr80_vgpr81
                                        ; implicit-def: $vgpr54_vgpr55
                                        ; implicit-def: $vgpr58_vgpr59
                                        ; implicit-def: $vgpr64_vgpr65
                                        ; implicit-def: $vgpr140_vgpr141
                                        ; implicit-def: $vgpr34_vgpr35
                                        ; implicit-def: $vgpr38_vgpr39
                                        ; implicit-def: $vgpr26_vgpr27
                                        ; implicit-def: $vgpr160_vgpr161
                                        ; implicit-def: $vgpr152_vgpr153
	s_xor_b32 exec_lo, exec_lo, s1
	s_cbranch_execz .LBB0_13
; %bb.12:
	v_add_co_u32 v8, s0, s2, v166
	v_add_co_ci_u32_e64 v66, s0, s3, v167, s0
	v_or_b32_e32 v2, 0x900, v204
	v_add_co_u32 v0, s0, v8, v204
	v_or_b32_e32 v4, 0xc00, v204
	v_add_co_ci_u32_e64 v1, s0, 0, v66, s0
	v_add_co_u32 v2, s0, v8, v2
	v_or_b32_e32 v6, 0xf00, v204
	v_add_co_ci_u32_e64 v3, s0, 0, v66, s0
	;; [unrolled: 3-line block ×3, first 2 shown]
	v_add_co_u32 v6, s0, v8, v6
	v_add_co_ci_u32_e64 v7, s0, 0, v66, s0
	v_add_co_u32 v10, s0, v8, v10
	s_clause 0x1
	global_load_dwordx4 v[44:47], v[2:3], off
	global_load_dwordx4 v[20:23], v[4:5], off
	v_or_b32_e32 v2, 0x1500, v204
	v_add_co_ci_u32_e64 v11, s0, 0, v66, s0
	v_or_b32_e32 v4, 0x1800, v204
	s_clause 0x1
	global_load_dwordx4 v[24:27], v[6:7], off
	global_load_dwordx4 v[16:19], v[10:11], off
	v_add_co_u32 v2, s0, v8, v2
	v_or_b32_e32 v6, 0x1b00, v204
	v_add_co_ci_u32_e64 v3, s0, 0, v66, s0
	v_add_co_u32 v4, s0, v8, v4
	v_or_b32_e32 v10, 0xa00, v204
	v_add_co_ci_u32_e64 v5, s0, 0, v66, s0
	v_add_co_u32 v6, s0, v8, v6
	v_add_co_ci_u32_e64 v7, s0, 0, v66, s0
	v_add_co_u32 v10, s0, v8, v10
	s_clause 0x1
	global_load_dwordx4 v[36:39], v[2:3], off
	global_load_dwordx4 v[32:35], v[4:5], off
	v_or_b32_e32 v2, 0xd00, v204
	v_add_co_ci_u32_e64 v11, s0, 0, v66, s0
	v_or_b32_e32 v4, 0x1000, v204
	s_clause 0x1
	global_load_dwordx4 v[28:31], v[6:7], off
	global_load_dwordx4 v[62:65], v[10:11], off
	v_add_co_u32 v2, s0, v8, v2
	v_or_b32_e32 v6, 0x1300, v204
	v_add_co_ci_u32_e64 v3, s0, 0, v66, s0
	v_add_co_u32 v4, s0, v8, v4
	v_or_b32_e32 v10, 0x1600, v204
	v_add_co_ci_u32_e64 v5, s0, 0, v66, s0
	;; [unrolled: 18-line block ×3, first 2 shown]
	v_add_co_u32 v6, s0, v8, v6
	v_or_b32_e32 v12, 0xe00, v204
	v_add_co_ci_u32_e64 v7, s0, 0, v66, s0
	v_add_co_u32 v10, s0, v8, v10
	v_or_b32_e32 v14, 0x1100, v204
	v_add_co_ci_u32_e64 v11, s0, 0, v66, s0
	;; [unrolled: 3-line block ×6, first 2 shown]
	v_add_co_u32 v72, s0, v8, v68
	v_add_co_ci_u32_e64 v73, s0, 0, v66, s0
	v_add_co_u32 v82, s0, v8, v67
	v_add_co_ci_u32_e64 v83, s0, 0, v66, s0
	s_clause 0x11
	global_load_dwordx4 v[78:81], v[2:3], off
	global_load_dwordx4 v[66:69], v[4:5], off
	;; [unrolled: 1-line block ×3, first 2 shown]
	global_load_dwordx4 v[138:141], v[0:1], off offset:256
	global_load_dwordx4 v[158:161], v[0:1], off offset:1536
	;; [unrolled: 1-line block ×7, first 2 shown]
	global_load_dwordx4 v[134:137], v[6:7], off
	global_load_dwordx4 v[126:129], v[10:11], off
	;; [unrolled: 1-line block ×8, first 2 shown]
.LBB0_13:
	s_or_b32 exec_lo, exec_lo, s1
	s_waitcnt vmcnt(25)
	v_add_f64 v[0:1], v[38:39], v[26:27]
	s_waitcnt vmcnt(23)
	v_add_f64 v[2:3], v[46:47], v[30:31]
	v_add_f64 v[4:5], v[36:37], v[24:25]
	;; [unrolled: 1-line block ×3, first 2 shown]
	v_add_f64 v[10:11], v[44:45], -v[28:29]
	v_add_f64 v[12:13], v[24:25], -v[36:37]
	s_mov_b32 s12, 0x134454ff
	s_mov_b32 s13, 0xbfee6f0e
	;; [unrolled: 1-line block ×4, first 2 shown]
	v_add_f64 v[14:15], v[44:45], -v[24:25]
	v_add_f64 v[60:61], v[46:47], -v[26:27]
	;; [unrolled: 1-line block ×5, first 2 shown]
	v_add_f64 v[92:93], v[20:21], v[16:17]
	s_waitcnt vmcnt(13)
	v_add_f64 v[94:95], v[32:33], v[158:159]
	v_add_f64 v[100:101], v[46:47], -v[30:31]
	v_add_f64 v[102:103], v[26:27], -v[38:39]
	;; [unrolled: 1-line block ×3, first 2 shown]
	s_waitcnt vmcnt(11)
	v_add_f64 v[44:45], v[154:155], v[44:45]
	s_mov_b32 s10, 0x4755a5e
	v_fma_f64 v[0:1], v[0:1], -0.5, v[156:157]
	v_fma_f64 v[2:3], v[2:3], -0.5, v[156:157]
	;; [unrolled: 1-line block ×4, first 2 shown]
	s_mov_b32 s11, 0xbfe2cf23
	s_mov_b32 s7, 0x3fe2cf23
	;; [unrolled: 1-line block ×3, first 2 shown]
	v_add_f64 v[104:105], v[28:29], -v[36:37]
	v_add_f64 v[120:121], v[36:37], -v[28:29]
	;; [unrolled: 1-line block ×4, first 2 shown]
	v_add_f64 v[162:163], v[158:159], v[150:151]
	v_add_f64 v[60:61], v[82:83], v[60:61]
	s_mov_b32 s14, 0x372fe950
	v_add_f64 v[84:85], v[86:87], v[84:85]
	v_fma_f64 v[92:93], v[92:93], -0.5, v[150:151]
	v_fma_f64 v[82:83], v[94:95], -0.5, v[150:151]
	s_mov_b32 s15, 0x3fd3c6ef
	v_add_f64 v[164:165], v[158:159], -v[20:21]
	v_add_f64 v[168:169], v[32:33], -v[16:17]
	;; [unrolled: 1-line block ×4, first 2 shown]
	v_fma_f64 v[174:175], v[10:11], s[4:5], v[0:1]
	v_fma_f64 v[154:155], v[12:13], s[12:13], v[2:3]
	;; [unrolled: 1-line block ×6, first 2 shown]
	v_add_f64 v[176:177], v[146:147], -v[48:49]
	v_add_f64 v[178:179], v[78:79], -v[52:53]
	v_add_f64 v[182:183], v[48:49], v[52:53]
	v_add_f64 v[186:187], v[146:147], v[78:79]
	;; [unrolled: 1-line block ×8, first 2 shown]
	v_fma_f64 v[4:5], v[100:101], s[4:5], v[4:5]
	v_fma_f64 v[6:7], v[102:103], s[12:13], v[6:7]
	;; [unrolled: 1-line block ×3, first 2 shown]
	v_add_f64 v[180:181], v[48:49], -v[146:147]
	v_add_f64 v[184:185], v[52:53], -v[78:79]
	;; [unrolled: 1-line block ×3, first 2 shown]
	v_fma_f64 v[94:95], v[12:13], s[6:7], v[174:175]
	v_fma_f64 v[154:155], v[10:11], s[6:7], v[154:155]
	;; [unrolled: 1-line block ×7, first 2 shown]
	v_add_f64 v[86:87], v[42:43], v[58:59]
	v_add_f64 v[190:191], v[66:67], -v[40:41]
	v_add_f64 v[196:197], v[148:149], -v[80:81]
	;; [unrolled: 1-line block ×5, first 2 shown]
	v_add_f64 v[164:165], v[168:169], v[164:165]
	v_add_f64 v[221:222], v[172:173], v[170:171]
	v_fma_f64 v[92:93], v[130:131], s[4:5], v[92:93]
	v_fma_f64 v[82:83], v[132:133], s[12:13], v[82:83]
	v_add_f64 v[114:115], v[16:17], v[114:115]
	v_add_f64 v[120:121], v[36:37], v[120:121]
	v_fma_f64 v[4:5], v[102:103], s[6:7], v[4:5]
	v_fma_f64 v[6:7], v[100:101], s[6:7], v[6:7]
	;; [unrolled: 1-line block ×5, first 2 shown]
	v_add_f64 v[94:95], v[68:69], v[64:65]
	v_fma_f64 v[102:103], v[130:131], s[10:11], v[174:175]
	v_fma_f64 v[172:173], v[84:85], s[14:15], v[2:3]
	;; [unrolled: 1-line block ×5, first 2 shown]
	v_fma_f64 v[10:11], v[182:183], -0.5, v[138:139]
	s_waitcnt vmcnt(9)
	v_fma_f64 v[12:13], v[200:201], -0.5, v[142:143]
	v_fma_f64 v[84:85], v[186:187], -0.5, v[138:139]
	v_add_f64 v[223:224], v[176:177], v[178:179]
	v_fma_f64 v[176:177], v[202:203], -0.5, v[142:143]
	v_add_f64 v[150:151], v[62:63], -v[66:67]
	v_fma_f64 v[86:87], v[86:87], -0.5, v[144:145]
	s_mov_b32 s16, 0x9b97f4a8
	s_mov_b32 s17, 0x3fe9e377
	v_add_f64 v[192:193], v[56:57], -v[62:63]
	v_add_f64 v[194:195], v[40:41], -v[66:67]
	;; [unrolled: 1-line block ×3, first 2 shown]
	s_waitcnt vmcnt(2)
	v_add_f64 v[60:61], v[108:109], v[90:91]
	v_fma_f64 v[92:93], v[132:133], s[6:7], v[92:93]
	v_mul_f64 v[0:1], v[24:25], s[10:11]
	v_mul_f64 v[2:3], v[44:45], s[12:13]
	v_fma_f64 v[82:83], v[130:131], s[6:7], v[82:83]
	v_add_f64 v[114:115], v[32:33], v[114:115]
	v_add_f64 v[120:121], v[28:29], v[120:121]
	v_fma_f64 v[28:29], v[14:15], s[14:15], v[4:5]
	v_fma_f64 v[170:171], v[104:105], s[14:15], v[6:7]
	;; [unrolled: 1-line block ×4, first 2 shown]
	v_add_f64 v[102:103], v[180:181], v[184:185]
	v_fma_f64 v[104:105], v[94:95], -0.5, v[144:145]
	v_add_f64 v[130:131], v[190:191], v[188:189]
	v_fma_f64 v[132:133], v[196:197], s[12:13], v[10:11]
	v_fma_f64 v[178:179], v[196:197], s[4:5], v[10:11]
	;; [unrolled: 1-line block ×7, first 2 shown]
	v_add_f64 v[213:214], v[64:65], -v[58:59]
	v_add_f64 v[215:216], v[68:69], -v[42:43]
	s_waitcnt vmcnt(0)
	v_add_f64 v[162:163], v[72:73], v[128:129]
	v_fma_f64 v[0:1], v[174:175], s[16:17], v[0:1]
	v_fma_f64 v[2:3], v[36:37], s[14:15], v[2:3]
	;; [unrolled: 1-line block ×7, first 2 shown]
	v_add_f64 v[10:11], v[120:121], v[114:115]
	v_add_f64 v[84:85], v[114:115], -v[120:121]
	v_add_f64 v[82:83], v[194:195], v[192:193]
	v_add_f64 v[120:121], v[106:107], v[88:89]
	v_fma_f64 v[60:61], v[60:61], -0.5, v[124:125]
	v_add_f64 v[194:195], v[126:127], -v[70:71]
	v_add_f64 v[217:218], v[58:59], -v[64:65]
	;; [unrolled: 1-line block ×3, first 2 shown]
	v_add_f64 v[138:139], v[146:147], v[138:139]
	v_fma_f64 v[114:115], v[211:212], s[6:7], v[184:185]
	v_add_f64 v[202:203], v[128:129], -v[108:109]
	v_fma_f64 v[184:185], v[209:210], s[6:7], v[176:177]
	v_add_f64 v[62:63], v[142:143], v[62:63]
	v_add_f64 v[225:226], v[106:107], -v[126:127]
	v_fma_f64 v[162:163], v[162:163], -0.5, v[124:125]
	v_add_f64 v[12:13], v[4:5], v[0:1]
	v_add_f64 v[92:93], v[4:5], -v[0:1]
	v_add_f64 v[94:95], v[100:101], -v[2:3]
	v_add_f64 v[86:87], v[2:3], v[100:101]
	v_fma_f64 v[0:1], v[154:155], s[12:13], v[104:105]
	v_fma_f64 v[2:3], v[154:155], s[4:5], v[104:105]
	;; [unrolled: 1-line block ×6, first 2 shown]
	v_add_f64 v[178:179], v[70:71], v[126:127]
	v_fma_f64 v[182:183], v[209:210], s[10:11], v[188:189]
	v_fma_f64 v[211:212], v[196:197], s[6:7], v[186:187]
	v_add_f64 v[186:187], v[215:216], v[213:214]
	v_fma_f64 v[190:191], v[154:155], s[6:7], v[190:191]
	v_add_f64 v[196:197], v[106:107], -v[88:89]
	v_fma_f64 v[154:155], v[154:155], s[10:11], v[200:201]
	v_fma_f64 v[176:177], v[130:131], s[14:15], v[114:115]
	v_fma_f64 v[114:115], v[120:121], -0.5, v[122:123]
	v_add_f64 v[120:121], v[128:129], -v[72:73]
	v_add_f64 v[209:210], v[72:73], -v[90:91]
	v_add_f64 v[198:199], v[219:220], v[217:218]
	v_add_f64 v[200:201], v[108:109], -v[90:91]
	v_add_f64 v[138:139], v[48:49], v[138:139]
	;; [unrolled: 2-line block ×3, first 2 shown]
	v_fma_f64 v[0:1], v[150:151], s[6:7], v[0:1]
	v_fma_f64 v[2:3], v[150:151], s[10:11], v[2:3]
	v_add_f64 v[150:151], v[96:97], v[110:111]
	v_fma_f64 v[180:181], v[130:131], s[14:15], v[100:101]
	v_add_f64 v[100:101], v[134:135], v[74:75]
	v_mul_f64 v[14:15], v[168:169], s[10:11]
	v_fma_f64 v[130:131], v[178:179], -0.5, v[122:123]
	v_fma_f64 v[188:189], v[82:83], s[14:15], v[182:183]
	v_fma_f64 v[178:179], v[82:83], s[14:15], v[184:185]
	;; [unrolled: 1-line block ×3, first 2 shown]
	v_add_f64 v[182:183], v[108:109], -v[128:129]
	v_add_f64 v[184:185], v[90:91], -v[72:73]
	v_fma_f64 v[213:214], v[196:197], s[12:13], v[162:163]
	v_fma_f64 v[192:193], v[186:187], s[14:15], v[190:191]
	;; [unrolled: 1-line block ×5, first 2 shown]
	v_add_f64 v[186:187], v[126:127], -v[106:107]
	v_fma_f64 v[217:218], v[120:121], s[12:13], v[114:115]
	v_add_f64 v[202:203], v[209:210], v[202:203]
	v_add_f64 v[122:123], v[126:127], v[122:123]
	v_add_f64 v[162:163], v[112:113], -v[98:99]
	v_add_f64 v[126:127], v[88:89], -v[70:71]
	v_fma_f64 v[114:115], v[120:121], s[4:5], v[114:115]
	v_fma_f64 v[142:143], v[150:151], -0.5, v[116:117]
	v_add_f64 v[150:151], v[136:137], -v[76:77]
	v_fma_f64 v[100:101], v[100:101], -0.5, v[116:117]
	v_add_f64 v[116:117], v[116:117], v[134:135]
	v_fma_f64 v[219:220], v[200:201], s[4:5], v[130:131]
	v_add_f64 v[229:230], v[110:111], -v[134:135]
	v_mul_f64 v[6:7], v[172:173], s[12:13]
	v_fma_f64 v[82:83], v[196:197], s[6:7], v[82:83]
	s_mov_b32 s19, 0xbfe9e377
	v_add_f64 v[209:210], v[184:185], v[182:183]
	v_fma_f64 v[184:185], v[194:195], s[6:7], v[213:214]
	v_fma_f64 v[182:183], v[198:199], s[14:15], v[0:1]
	;; [unrolled: 1-line block ×6, first 2 shown]
	v_add_f64 v[130:131], v[52:53], v[138:139]
	v_add_f64 v[138:139], v[134:135], -v[110:111]
	v_add_f64 v[154:155], v[74:75], -v[96:97]
	v_add_f64 v[186:187], v[215:216], v[186:187]
	v_fma_f64 v[217:218], v[200:201], s[10:11], v[217:218]
	v_add_f64 v[106:107], v[106:107], v[122:123]
	v_add_f64 v[215:216], v[96:97], -v[74:75]
	v_fma_f64 v[213:214], v[150:151], s[12:13], v[142:143]
	v_fma_f64 v[227:228], v[162:163], s[4:5], v[100:101]
	v_add_f64 v[116:117], v[116:117], v[110:111]
	v_fma_f64 v[122:123], v[120:121], s[10:11], v[219:220]
	v_fma_f64 v[100:101], v[162:163], s[12:13], v[100:101]
	s_mov_b32 s18, s16
	v_fma_f64 v[56:57], v[202:203], s[14:15], v[82:83]
	v_add_f64 v[82:83], v[126:127], v[225:226]
	v_fma_f64 v[126:127], v[150:151], s[4:5], v[142:143]
	v_fma_f64 v[184:185], v[209:210], s[14:15], v[184:185]
	v_mul_f64 v[142:143], v[190:191], s[10:11]
	v_fma_f64 v[14:15], v[28:29], s[18:19], v[14:15]
	v_fma_f64 v[0:1], v[120:121], s[6:7], v[0:1]
	;; [unrolled: 1-line block ×5, first 2 shown]
	v_add_f64 v[60:61], v[40:41], v[62:63]
	v_mul_f64 v[62:63], v[192:193], s[10:11]
	v_mul_f64 v[114:115], v[182:183], s[12:13]
	;; [unrolled: 1-line block ×3, first 2 shown]
	v_add_f64 v[138:139], v[154:155], v[138:139]
	v_fma_f64 v[200:201], v[186:187], s[14:15], v[217:218]
	v_fma_f64 v[154:155], v[162:163], s[10:11], v[213:214]
	v_add_f64 v[106:107], v[88:89], v[106:107]
	v_add_f64 v[116:117], v[96:97], v[116:117]
	;; [unrolled: 1-line block ×3, first 2 shown]
	v_fma_f64 v[215:216], v[150:151], s[10:11], v[227:228]
	v_fma_f64 v[150:151], v[150:151], s[6:7], v[100:101]
	v_mul_f64 v[213:214], v[56:57], s[10:11]
	v_fma_f64 v[202:203], v[82:83], s[14:15], v[122:123]
	v_fma_f64 v[126:127], v[162:163], s[6:7], v[126:127]
	v_mul_f64 v[122:123], v[184:185], s[12:13]
	v_fma_f64 v[4:5], v[223:224], s[14:15], v[4:5]
	s_mov_b32 s1, 0xbfd3c6ef
	v_fma_f64 v[40:41], v[82:83], s[14:15], v[0:1]
	v_mul_f64 v[0:1], v[196:197], s[12:13]
	v_fma_f64 v[186:187], v[186:187], s[14:15], v[2:3]
	v_mul_f64 v[2:3], v[194:195], s[10:11]
	s_mov_b32 s0, s14
	v_fma_f64 v[62:63], v[180:181], s[16:17], v[62:63]
	v_add_f64 v[60:61], v[66:67], v[60:61]
	v_fma_f64 v[66:67], v[102:103], s[14:15], v[132:133]
	v_fma_f64 v[132:133], v[188:189], s[14:15], v[114:115]
	;; [unrolled: 1-line block ×5, first 2 shown]
	v_add_f64 v[130:131], v[78:79], v[130:131]
	v_fma_f64 v[217:218], v[223:224], s[14:15], v[104:105]
	v_fma_f64 v[142:143], v[176:177], s[18:19], v[142:143]
	;; [unrolled: 1-line block ×3, first 2 shown]
	v_add_f64 v[219:220], v[74:75], v[116:117]
	v_add_f64 v[70:71], v[70:71], v[106:107]
	v_fma_f64 v[223:224], v[200:201], s[16:17], v[213:214]
	v_add_f64 v[82:83], v[164:165], v[14:15]
	v_fma_f64 v[214:215], v[209:210], s[14:15], v[215:216]
	v_fma_f64 v[225:226], v[202:203], s[14:15], v[122:123]
	v_add_f64 v[102:103], v[164:165], -v[14:15]
	v_fma_f64 v[14:15], v[209:210], s[14:15], v[150:151]
	v_fma_f64 v[0:1], v[40:41], s[0:1], v[0:1]
	v_fma_f64 v[126:127], v[138:139], s[14:15], v[126:127]
	v_fma_f64 v[2:3], v[186:187], s[18:19], v[2:3]
	v_add_f64 v[106:107], v[4:5], v[62:63]
	v_add_f64 v[114:115], v[4:5], -v[62:63]
	v_mul_u32_u24_e32 v4, 0x1e0, v9
	v_add_f64 v[120:121], v[66:67], v[132:133]
	v_add_f64 v[116:117], v[66:67], -v[132:133]
	v_add_f64 v[122:123], v[162:163], v[211:212]
	v_add_f64 v[88:89], v[6:7], v[221:222]
	v_lshlrev_b32_e32 v213, 3, v4
	v_add_f64 v[104:105], v[60:61], v[130:131]
	v_add_f64 v[132:133], v[130:131], -v[60:61]
	v_add_f64 v[130:131], v[217:218], v[142:143]
	v_add_f64 v[100:101], v[221:222], -v[6:7]
	v_mul_u32_u24_e32 v8, 10, v208
	v_add_nc_u32_e32 v9, 0, v213
	v_add_f64 v[162:163], v[162:163], -v[211:212]
	v_add_f64 v[164:165], v[217:218], -v[142:143]
	v_add_f64 v[209:210], v[219:220], v[70:71]
	v_add_f64 v[211:212], v[154:155], v[223:224]
	v_add_f64 v[60:61], v[154:155], -v[223:224]
	v_add_f64 v[62:63], v[214:215], -v[225:226]
	v_add_f64 v[214:215], v[214:215], v[225:226]
	v_add_f64 v[216:217], v[14:15], v[0:1]
	v_add_f64 v[6:7], v[219:220], -v[70:71]
	v_add_f64 v[4:5], v[126:127], v[2:3]
	v_add_f64 v[0:1], v[14:15], -v[0:1]
	v_add_f64 v[2:3], v[126:127], -v[2:3]
	v_lshl_add_u32 v66, v8, 3, v9
	v_mul_i32_i24_e32 v8, 10, v205
	ds_write_b128 v66, v[10:13]
	ds_write_b128 v66, v[86:89] offset:16
	v_lshl_add_u32 v67, v8, 3, v9
	v_mul_i32_i24_e32 v8, 10, v206
	ds_write_b128 v66, v[82:85] offset:32
	ds_write_b128 v66, v[92:95] offset:48
	;; [unrolled: 1-line block ×3, first 2 shown]
	ds_write_b128 v67, v[104:107]
	v_cmp_gt_u32_e64 s0, 12, v208
                                        ; implicit-def: $vgpr154_vgpr155
                                        ; implicit-def: $vgpr84_vgpr85
	v_lshl_add_u32 v70, v8, 3, v9
	v_lshlrev_b32_e32 v8, 3, v208
	ds_write_b128 v67, v[120:123] offset:16
	ds_write_b128 v67, v[130:133] offset:32
	;; [unrolled: 1-line block ×4, first 2 shown]
	ds_write_b128 v70, v[209:212]
	ds_write_b128 v70, v[214:217] offset:16
	ds_write_b128 v70, v[4:7] offset:32
	v_lshl_add_u32 v212, v206, 3, v9
	v_lshl_add_u32 v211, v205, 3, v9
	ds_write_b128 v70, v[60:63] offset:48
	ds_write_b128 v70, v[0:3] offset:64
	v_add3_u32 v210, 0, v8, v213
	v_add_nc_u32_e32 v209, v9, v8
	s_waitcnt lgkmcnt(0)
	s_barrier
	buffer_gl0_inv
	v_add_nc_u32_e32 v215, 0x800, v210
	ds_read_b64 v[142:143], v209
	ds_read_b64 v[126:127], v212
	;; [unrolled: 1-line block ×3, first 2 shown]
	ds_read_b64 v[150:151], v210 offset:3616
	ds_read2_b64 v[162:165], v210 offset0:60 offset1:76
	ds_read2_b64 v[104:107], v210 offset0:92 offset1:120
	;; [unrolled: 1-line block ×8, first 2 shown]
	ds_read2_b64 v[12:15], v215 offset1:16
	ds_read2_b64 v[86:89], v215 offset0:120 offset1:136
	v_lshlrev_b32_e32 v214, 3, v207
	s_and_saveexec_b32 s1, s0
	s_cbranch_execz .LBB0_15
; %bb.14:
	v_add_nc_u32_e32 v0, 0x400, v210
	ds_read2_b64 v[216:219], v210 offset0:108 offset1:168
	ds_read2_b64 v[82:85], v215 offset0:92 offset1:152
	;; [unrolled: 1-line block ×3, first 2 shown]
	v_add3_u32 v0, 0, v214, v213
	ds_read_b64 v[4:5], v0
	ds_read_b64 v[154:155], v210 offset:3744
	s_waitcnt lgkmcnt(4)
	v_mov_b32_e32 v6, v216
	s_waitcnt lgkmcnt(3)
	v_mov_b32_e32 v2, v82
	;; [unrolled: 2-line block ×3, first 2 shown]
	v_mov_b32_e32 v0, v222
	v_mov_b32_e32 v60, v218
	;; [unrolled: 1-line block ×7, first 2 shown]
.LBB0_15:
	s_or_b32 exec_lo, exec_lo, s1
	v_add_f64 v[82:83], v[22:23], v[18:19]
	v_add_f64 v[216:217], v[34:35], v[160:161]
	;; [unrolled: 1-line block ×5, first 2 shown]
	v_add_f64 v[78:79], v[146:147], -v[78:79]
	v_add_f64 v[146:147], v[148:149], v[80:81]
	v_add_f64 v[64:65], v[144:145], v[64:65]
	;; [unrolled: 1-line block ×4, first 2 shown]
	v_add_f64 v[32:33], v[158:159], -v[32:33]
	v_add_f64 v[16:17], v[20:21], -v[16:17]
	v_mul_f64 v[156:157], v[174:175], s[6:7]
	v_add_f64 v[174:175], v[148:149], v[140:141]
	v_add_f64 v[20:21], v[160:161], -v[22:23]
	v_add_f64 v[160:161], v[22:23], -v[160:161]
	;; [unrolled: 1-line block ×3, first 2 shown]
	v_mul_f64 v[44:45], v[44:45], s[14:15]
	v_add_f64 v[228:229], v[118:119], v[136:137]
	v_add_f64 v[74:75], v[134:135], -v[74:75]
	v_add_f64 v[124:125], v[128:129], v[124:125]
	v_add_f64 v[158:159], v[34:35], -v[18:19]
	v_fma_f64 v[82:83], v[82:83], -0.5, v[152:153]
	v_fma_f64 v[152:153], v[216:217], -0.5, v[152:153]
	v_add_f64 v[22:23], v[22:23], v[218:219]
	v_add_f64 v[26:27], v[46:47], v[26:27]
	v_fma_f64 v[46:47], v[222:223], -0.5, v[140:141]
	v_add_f64 v[220:221], v[18:19], -v[34:35]
	v_fma_f64 v[140:141], v[146:147], -0.5, v[140:141]
	v_mul_f64 v[172:173], v[172:173], s[14:15]
	v_fma_f64 v[144:145], v[144:145], -0.5, v[118:119]
	v_add_f64 v[96:97], v[110:111], -v[96:97]
	v_fma_f64 v[118:119], v[226:227], -0.5, v[118:119]
	v_add_f64 v[52:53], v[148:149], -v[50:51]
	v_add_f64 v[148:149], v[50:51], -v[148:149]
	v_fma_f64 v[156:157], v[24:25], s[16:17], v[156:157]
	v_add_f64 v[24:25], v[50:51], v[174:175]
	v_add_f64 v[50:51], v[58:59], v[64:65]
	v_add_f64 v[224:225], v[80:81], -v[54:55]
	v_add_f64 v[216:217], v[54:55], -v[80:81]
	v_add_f64 v[110:111], v[136:137], -v[112:113]
	v_add_f64 v[134:135], v[76:77], -v[98:99]
	v_add_f64 v[136:137], v[112:113], -v[136:137]
	v_fma_f64 v[44:45], v[36:37], s[4:5], v[44:45]
	v_fma_f64 v[218:219], v[32:33], s[4:5], v[82:83]
	;; [unrolled: 1-line block ×5, first 2 shown]
	v_add_f64 v[18:19], v[18:19], v[22:23]
	v_add_f64 v[22:23], v[38:39], v[26:27]
	v_fma_f64 v[26:27], v[78:79], s[4:5], v[46:47]
	v_fma_f64 v[38:39], v[78:79], s[12:13], v[46:47]
	;; [unrolled: 1-line block ×4, first 2 shown]
	v_add_f64 v[36:37], v[228:229], v[112:113]
	v_fma_f64 v[112:113], v[74:75], s[4:5], v[144:145]
	v_add_f64 v[108:109], v[108:109], v[124:125]
	v_add_f64 v[146:147], v[98:99], -v[76:77]
	v_add_f64 v[20:21], v[158:159], v[20:21]
	v_add_f64 v[158:159], v[220:221], v[160:161]
	v_fma_f64 v[160:161], v[170:171], s[4:5], -v[172:173]
	v_fma_f64 v[170:171], v[96:97], s[12:13], v[118:119]
	v_fma_f64 v[118:119], v[96:97], s[4:5], v[118:119]
	;; [unrolled: 1-line block ×3, first 2 shown]
	v_mul_f64 v[168:169], v[168:169], s[16:17]
	v_mul_f64 v[192:193], v[192:193], s[16:17]
	v_fma_f64 v[140:141], v[16:17], s[6:7], v[218:219]
	v_fma_f64 v[152:153], v[32:33], s[6:7], v[222:223]
	;; [unrolled: 1-line block ×4, first 2 shown]
	v_add_f64 v[52:53], v[52:53], v[224:225]
	v_add_f64 v[24:25], v[54:55], v[24:25]
	;; [unrolled: 1-line block ×3, first 2 shown]
	v_fma_f64 v[26:27], v[48:49], s[6:7], v[26:27]
	v_mul_f64 v[188:189], v[188:189], s[4:5]
	v_mul_f64 v[198:199], v[198:199], s[14:15]
	v_add_f64 v[124:125], v[148:149], v[216:217]
	v_add_f64 v[18:19], v[34:35], v[18:19]
	;; [unrolled: 1-line block ×3, first 2 shown]
	v_fma_f64 v[30:31], v[48:49], s[10:11], v[38:39]
	v_fma_f64 v[34:35], v[78:79], s[6:7], v[46:47]
	;; [unrolled: 1-line block ×3, first 2 shown]
	v_mul_f64 v[190:191], v[190:191], s[16:17]
	v_mul_f64 v[128:129], v[200:201], s[6:7]
	v_add_f64 v[50:51], v[134:135], v[110:111]
	v_add_f64 v[36:37], v[98:99], v[36:37]
	v_fma_f64 v[58:59], v[96:97], s[6:7], v[112:113]
	v_add_f64 v[82:83], v[90:91], v[108:109]
	v_mul_f64 v[200:201], v[202:203], s[4:5]
	v_mul_f64 v[196:197], v[196:197], s[14:15]
	v_add_f64 v[54:55], v[146:147], v[136:137]
	v_fma_f64 v[78:79], v[74:75], s[6:7], v[170:171]
	v_fma_f64 v[74:75], v[74:75], s[10:11], v[118:119]
	v_mul_f64 v[194:195], v[194:195], s[16:17]
	v_fma_f64 v[64:65], v[96:97], s[10:11], v[144:145]
	v_fma_f64 v[46:47], v[20:21], s[14:15], v[140:141]
	;; [unrolled: 1-line block ×4, first 2 shown]
	v_fma_f64 v[90:91], v[28:29], s[6:7], -v[168:169]
	v_fma_f64 v[16:17], v[20:21], s[14:15], v[16:17]
	v_fma_f64 v[96:97], v[180:181], s[6:7], v[192:193]
	v_add_f64 v[80:81], v[80:81], v[24:25]
	v_add_f64 v[20:21], v[68:69], v[42:43]
	v_fma_f64 v[68:69], v[52:53], s[14:15], v[26:27]
	v_fma_f64 v[98:99], v[182:183], s[14:15], v[188:189]
	v_fma_f64 v[34:35], v[124:125], s[14:15], v[34:35]
	v_fma_f64 v[110:111], v[124:125], s[14:15], v[38:39]
	v_fma_f64 v[112:113], v[178:179], s[4:5], -v[198:199]
	v_fma_f64 v[108:109], v[52:53], s[14:15], v[30:31]
	v_fma_f64 v[118:119], v[176:177], s[6:7], -v[190:191]
	v_add_f64 v[124:125], v[76:77], v[36:37]
	v_fma_f64 v[134:135], v[50:51], s[14:15], v[58:59]
	v_add_f64 v[144:145], v[72:73], v[82:83]
	v_fma_f64 v[128:129], v[56:57], s[16:17], v[128:129]
	v_fma_f64 v[136:137], v[54:55], s[14:15], v[78:79]
	;; [unrolled: 1-line block ×4, first 2 shown]
	v_fma_f64 v[148:149], v[40:41], s[4:5], -v[196:197]
	v_fma_f64 v[64:65], v[50:51], s[14:15], v[64:65]
	v_fma_f64 v[152:153], v[186:187], s[6:7], -v[194:195]
	v_add_f64 v[24:25], v[22:23], v[18:19]
	v_add_f64 v[26:27], v[46:47], v[156:157]
	v_add_f64 v[28:29], v[48:49], v[44:45]
	v_add_f64 v[30:31], v[32:33], v[160:161]
	v_add_f64 v[36:37], v[16:17], v[90:91]
	v_add_f64 v[38:39], v[18:19], -v[22:23]
	v_add_f64 v[40:41], v[46:47], -v[156:157]
	v_add_f64 v[42:43], v[48:49], -v[44:45]
	v_add_f64 v[44:45], v[32:33], -v[160:161]
	v_add_f64 v[46:47], v[16:17], -v[90:91]
	v_add_f64 v[48:49], v[20:21], v[80:81]
	v_add_f64 v[50:51], v[68:69], v[96:97]
	v_add_f64 v[52:53], v[34:35], v[98:99]
	v_add_f64 v[54:55], v[110:111], v[112:113]
	v_add_f64 v[56:57], v[108:109], v[118:119]
	v_add_f64 v[58:59], v[80:81], -v[20:21]
	v_add_f64 v[71:72], v[68:69], -v[96:97]
	v_add_f64 v[73:74], v[34:35], -v[98:99]
	v_add_f64 v[75:76], v[110:111], -v[112:113]
	v_add_f64 v[77:78], v[108:109], -v[118:119]
	v_add_f64 v[79:80], v[124:125], v[144:145]
	v_add_f64 v[81:82], v[134:135], v[128:129]
	v_add_f64 v[96:97], v[136:137], v[146:147]
	v_add_f64 v[98:99], v[140:141], v[148:149]
	v_add_f64 v[16:17], v[64:65], v[152:153]
	v_add_f64 v[18:19], v[124:125], -v[144:145]
	v_add_f64 v[32:33], v[134:135], -v[128:129]
	v_add_f64 v[34:35], v[136:137], -v[146:147]
	v_add_f64 v[20:21], v[140:141], -v[148:149]
	v_add_f64 v[22:23], v[64:65], -v[152:153]
	s_waitcnt lgkmcnt(0)
	s_barrier
	buffer_gl0_inv
	ds_write_b128 v66, v[24:27]
	ds_write_b128 v66, v[28:31] offset:16
	ds_write_b128 v66, v[36:39] offset:32
	ds_write_b128 v66, v[40:43] offset:48
	ds_write_b128 v66, v[44:47] offset:64
	ds_write_b128 v67, v[48:51]
	ds_write_b128 v67, v[52:55] offset:16
	ds_write_b128 v67, v[56:59] offset:32
	ds_write_b128 v67, v[71:74] offset:48
	ds_write_b128 v67, v[75:78] offset:64
	;; [unrolled: 5-line block ×3, first 2 shown]
	s_waitcnt lgkmcnt(0)
	s_barrier
	buffer_gl0_inv
	ds_read_b64 v[90:91], v209
	ds_read2_b64 v[78:81], v210 offset0:60 offset1:76
	ds_read2_b64 v[52:55], v210 offset0:92 offset1:120
	;; [unrolled: 1-line block ×8, first 2 shown]
	ds_read2_b64 v[28:31], v215 offset1:16
	ds_read2_b64 v[40:43], v215 offset0:120 offset1:136
	ds_read_b64 v[108:109], v212
	ds_read_b64 v[110:111], v211
	ds_read_b64 v[112:113], v210 offset:3616
                                        ; implicit-def: $vgpr38_vgpr39
                                        ; implicit-def: $vgpr118_vgpr119
	s_and_saveexec_b32 s1, s0
	s_cbranch_execz .LBB0_17
; %bb.16:
	v_add_nc_u32_e32 v16, 0x400, v210
	v_add_nc_u32_e32 v17, 0x800, v210
	ds_read2_b64 v[72:75], v210 offset0:108 offset1:168
	ds_read2_b64 v[20:23], v16 offset0:100 offset1:160
	v_add3_u32 v16, 0, v214, v213
	ds_read2_b64 v[36:39], v17 offset0:92 offset1:152
	ds_read_b64 v[16:17], v16
	ds_read_b64 v[118:119], v210 offset:3744
	s_waitcnt lgkmcnt(4)
	v_mov_b32_e32 v18, v72
	s_waitcnt lgkmcnt(3)
	v_mov_b32_e32 v35, v21
	v_mov_b32_e32 v34, v20
	v_mov_b32_e32 v20, v22
	v_mov_b32_e32 v21, v23
	s_waitcnt lgkmcnt(2)
	v_mov_b32_e32 v22, v36
	v_mov_b32_e32 v32, v74
	;; [unrolled: 1-line block ×5, first 2 shown]
.LBB0_17:
	s_or_b32 exec_lo, exec_lo, s1
	v_add_nc_u32_e32 v36, -10, v208
	v_cmp_gt_u32_e64 s1, 10, v208
	v_mov_b32_e32 v37, 0
	s_mov_b32 s4, 0x667f3bcd
	s_mov_b32 s5, 0x3fe6a09e
	;; [unrolled: 1-line block ×3, first 2 shown]
	v_cndmask_b32_e64 v140, v36, v208, s1
	s_mov_b32 s6, s4
	v_mul_i32_i24_e32 v36, 7, v140
	v_lshlrev_b64 v[36:37], 4, v[36:37]
	v_add_co_u32 v124, s1, s8, v36
	v_add_co_ci_u32_e64 v125, s1, s9, v37, s1
	v_cmp_lt_u32_e64 s1, 9, v208
	s_clause 0x1
	global_load_dwordx4 v[96:99], v[124:125], off
	global_load_dwordx4 v[72:75], v[124:125], off offset:16
	s_waitcnt vmcnt(1) lgkmcnt(12)
	v_mul_f64 v[36:37], v[78:79], v[98:99]
	v_fma_f64 v[134:135], v[162:163], v[96:97], v[36:37]
	v_mul_f64 v[36:37], v[162:163], v[98:99]
	v_fma_f64 v[136:137], v[78:79], v[96:97], -v[36:37]
	v_and_b32_e32 v36, 0xff, v205
	v_mul_lo_u16 v36, 0xcd, v36
	v_lshrrev_b16 v141, 11, v36
	v_mul_lo_u16 v36, v141, 10
	v_sub_nc_u16 v144, v205, v36
	v_mov_b32_e32 v36, 4
	v_mul_lo_u16 v37, v144, 7
	v_lshlrev_b32_sdwa v145, v36, v37 dst_sel:DWORD dst_unused:UNUSED_PAD src0_sel:DWORD src1_sel:BYTE_0
	s_clause 0x1
	global_load_dwordx4 v[96:99], v145, s[8:9]
	global_load_dwordx4 v[76:79], v[124:125], off offset:96
	s_waitcnt vmcnt(1)
	v_mul_f64 v[36:37], v[80:81], v[98:99]
	v_mul_f64 v[82:83], v[164:165], v[98:99]
	v_fma_f64 v[36:37], v[164:165], v[96:97], v[36:37]
	v_fma_f64 v[128:129], v[80:81], v[96:97], -v[82:83]
	s_clause 0x1
	global_load_dwordx4 v[80:83], v[124:125], off offset:32
	global_load_dwordx4 v[96:99], v[124:125], off offset:48
	s_waitcnt vmcnt(1) lgkmcnt(10)
	v_mul_f64 v[146:147], v[68:69], v[82:83]
	v_mul_f64 v[82:83], v[130:131], v[82:83]
	v_fma_f64 v[152:153], v[130:131], v[80:81], v[146:147]
	v_fma_f64 v[156:157], v[68:69], v[80:81], -v[82:83]
	s_clause 0x1
	global_load_dwordx4 v[80:83], v145, s[8:9] offset:32
	global_load_dwordx4 v[146:149], v145, s[8:9] offset:16
	s_waitcnt vmcnt(1)
	v_mul_f64 v[68:69], v[70:71], v[82:83]
	v_fma_f64 v[158:159], v[132:133], v[80:81], v[68:69]
	v_mul_f64 v[68:69], v[132:133], v[82:83]
	v_fma_f64 v[160:161], v[70:71], v[80:81], -v[68:69]
	s_clause 0x1
	global_load_dwordx4 v[68:71], v[124:125], off offset:64
	global_load_dwordx4 v[80:83], v[124:125], off offset:80
	s_waitcnt vmcnt(1) lgkmcnt(8)
	v_mul_f64 v[124:125], v[64:65], v[70:71]
	v_mul_f64 v[70:71], v[120:121], v[70:71]
	v_fma_f64 v[124:125], v[120:121], v[68:69], v[124:125]
	v_fma_f64 v[120:121], v[64:65], v[68:69], -v[70:71]
	s_clause 0x1
	global_load_dwordx4 v[130:133], v145, s[8:9] offset:64
	global_load_dwordx4 v[68:71], v145, s[8:9] offset:48
	s_waitcnt vmcnt(1)
	v_mul_f64 v[64:65], v[66:67], v[132:133]
	v_fma_f64 v[162:163], v[122:123], v[130:131], v[64:65]
	v_mul_f64 v[64:65], v[122:123], v[132:133]
	v_fma_f64 v[122:123], v[66:67], v[130:131], -v[64:65]
	s_waitcnt lgkmcnt(6)
	v_mul_f64 v[64:65], v[56:57], v[78:79]
	v_fma_f64 v[164:165], v[114:115], v[76:77], v[64:65]
	v_mul_f64 v[64:65], v[114:115], v[78:79]
	v_fma_f64 v[114:115], v[56:57], v[76:77], -v[64:65]
	s_clause 0x1
	global_load_dwordx4 v[64:67], v145, s[8:9] offset:96
	global_load_dwordx4 v[76:79], v145, s[8:9] offset:80
	v_mov_b32_e32 v145, 7
	s_waitcnt vmcnt(1)
	v_mul_f64 v[56:57], v[58:59], v[66:67]
	v_fma_f64 v[168:169], v[116:117], v[64:65], v[56:57]
	v_mul_f64 v[56:57], v[116:117], v[66:67]
	v_fma_f64 v[116:117], v[58:59], v[64:65], -v[56:57]
	v_mul_f64 v[56:57], v[54:55], v[74:75]
	v_fma_f64 v[132:133], v[106:107], v[72:73], v[56:57]
	v_mul_f64 v[56:57], v[106:107], v[74:75]
	v_fma_f64 v[54:55], v[54:55], v[72:73], -v[56:57]
	v_and_b32_e32 v56, 0xff, v206
	v_mul_lo_u16 v56, 0xcd, v56
	v_lshrrev_b16 v174, 11, v56
	v_mul_lo_u16 v56, v174, 10
	v_sub_nc_u16 v175, v206, v56
	v_mul_u32_u24_sdwa v56, v175, v145 dst_sel:DWORD dst_unused:UNUSED_PAD src0_sel:BYTE_0 src1_sel:DWORD
	v_lshlrev_b32_e32 v170, 4, v56
	s_clause 0x1
	global_load_dwordx4 v[56:59], v170, s[8:9]
	global_load_dwordx4 v[64:67], v170, s[8:9] offset:16
	s_waitcnt vmcnt(1)
	v_mul_f64 v[72:73], v[52:53], v[58:59]
	v_mul_f64 v[58:59], v[104:105], v[58:59]
	v_fma_f64 v[74:75], v[104:105], v[56:57], v[72:73]
	v_fma_f64 v[104:105], v[52:53], v[56:57], -v[58:59]
	s_waitcnt lgkmcnt(5)
	v_mul_f64 v[52:53], v[48:49], v[148:149]
	v_mul_f64 v[56:57], v[94:95], v[82:83]
	v_fma_f64 v[106:107], v[100:101], v[146:147], v[52:53]
	v_mul_f64 v[52:53], v[100:101], v[148:149]
	v_fma_f64 v[52:53], v[48:49], v[146:147], -v[52:53]
	s_waitcnt vmcnt(0)
	v_mul_f64 v[48:49], v[50:51], v[66:67]
	v_fma_f64 v[100:101], v[102:103], v[64:65], v[48:49]
	v_mul_f64 v[48:49], v[102:103], v[66:67]
	v_fma_f64 v[48:49], v[50:51], v[64:65], -v[48:49]
	v_mul_f64 v[50:51], v[46:47], v[82:83]
	v_fma_f64 v[46:47], v[46:47], v[80:81], -v[56:57]
	s_clause 0x1
	global_load_dwordx4 v[56:59], v170, s[8:9] offset:64
	global_load_dwordx4 v[64:67], v170, s[8:9] offset:80
	v_fma_f64 v[50:51], v[94:95], v[80:81], v[50:51]
	s_waitcnt vmcnt(1)
	v_mul_f64 v[72:73], v[44:45], v[58:59]
	v_mul_f64 v[58:59], v[92:93], v[58:59]
	v_fma_f64 v[80:81], v[92:93], v[56:57], v[72:73]
	v_fma_f64 v[82:83], v[44:45], v[56:57], -v[58:59]
	s_waitcnt lgkmcnt(3)
	v_mul_f64 v[44:45], v[40:41], v[78:79]
	v_fma_f64 v[92:93], v[86:87], v[76:77], v[44:45]
	v_mul_f64 v[44:45], v[86:87], v[78:79]
	v_fma_f64 v[76:77], v[40:41], v[76:77], -v[44:45]
	s_waitcnt vmcnt(0)
	v_mul_f64 v[40:41], v[42:43], v[66:67]
	v_fma_f64 v[78:79], v[88:89], v[64:65], v[40:41]
	v_mul_f64 v[40:41], v[88:89], v[66:67]
	v_fma_f64 v[66:67], v[42:43], v[64:65], -v[40:41]
	v_and_b32_e32 v40, 0xff, v207
	v_mul_lo_u16 v40, 0xcd, v40
	v_lshrrev_b16 v130, 11, v40
	v_mul_lo_u16 v40, v130, 10
	v_sub_nc_u16 v131, v207, v40
	v_mul_u32_u24_sdwa v40, v131, v145 dst_sel:DWORD dst_unused:UNUSED_PAD src0_sel:BYTE_0 src1_sel:DWORD
	v_lshlrev_b32_e32 v64, 4, v40
	s_clause 0x1
	global_load_dwordx4 v[42:45], v64, s[8:9] offset:16
	global_load_dwordx4 v[56:59], v64, s[8:9] offset:32
	s_waitcnt vmcnt(1)
	v_mul_f64 v[40:41], v[32:33], v[44:45]
	v_mul_f64 v[44:45], v[60:61], v[44:45]
	v_fma_f64 v[40:41], v[60:61], v[42:43], v[40:41]
	v_fma_f64 v[72:73], v[32:33], v[42:43], -v[44:45]
	s_waitcnt vmcnt(0)
	v_mul_f64 v[32:33], v[34:35], v[58:59]
	v_fma_f64 v[60:61], v[62:63], v[56:57], v[32:33]
	v_mul_f64 v[32:33], v[62:63], v[58:59]
	v_fma_f64 v[86:87], v[34:35], v[56:57], -v[32:33]
	s_clause 0x1
	global_load_dwordx4 v[32:35], v64, s[8:9] offset:80
	global_load_dwordx4 v[42:45], v64, s[8:9] offset:96
	s_waitcnt vmcnt(1)
	v_mul_f64 v[56:57], v[38:39], v[34:35]
	v_mul_f64 v[34:35], v[84:85], v[34:35]
	v_fma_f64 v[88:89], v[84:85], v[32:33], v[56:57]
	v_fma_f64 v[84:85], v[38:39], v[32:33], -v[34:35]
	s_clause 0x1
	global_load_dwordx4 v[32:35], v170, s[8:9] offset:96
	global_load_dwordx4 v[56:59], v64, s[8:9]
	v_add_f64 v[84:85], v[72:73], -v[84:85]
	s_waitcnt vmcnt(1) lgkmcnt(0)
	v_mul_f64 v[38:39], v[112:113], v[34:35]
	v_mul_f64 v[34:35], v[150:151], v[34:35]
	v_fma_f64 v[94:95], v[150:151], v[32:33], v[38:39]
	v_fma_f64 v[102:103], v[112:113], v[32:33], -v[34:35]
	v_mul_f64 v[32:33], v[118:119], v[44:45]
	v_fma_f64 v[112:113], v[154:155], v[42:43], v[32:33]
	v_mul_f64 v[32:33], v[154:155], v[44:45]
	v_fma_f64 v[118:119], v[118:119], v[42:43], -v[32:33]
	s_clause 0x1
	global_load_dwordx4 v[42:45], v170, s[8:9] offset:32
	global_load_dwordx4 v[32:35], v170, s[8:9] offset:48
	s_waitcnt vmcnt(1)
	v_mul_f64 v[38:39], v[24:25], v[44:45]
	v_fma_f64 v[145:146], v[8:9], v[42:43], v[38:39]
	v_mul_f64 v[8:9], v[8:9], v[44:45]
	v_add_f64 v[38:39], v[134:135], -v[124:125]
	v_fma_f64 v[147:148], v[24:25], v[42:43], -v[8:9]
	v_mul_f64 v[8:9], v[18:19], v[58:59]
	v_add_f64 v[24:25], v[136:137], -v[120:121]
	v_fma_f64 v[149:150], v[6:7], v[56:57], v[8:9]
	v_mul_f64 v[6:7], v[6:7], v[58:59]
	v_fma_f64 v[154:155], v[18:19], v[56:57], -v[6:7]
	s_clause 0x1
	global_load_dwordx4 v[6:9], v64, s[8:9] offset:64
	global_load_dwordx4 v[62:65], v64, s[8:9] offset:48
	s_waitcnt vmcnt(0)
	s_barrier
	buffer_gl0_inv
	v_mul_f64 v[18:19], v[22:23], v[8:9]
	v_fma_f64 v[170:171], v[2:3], v[6:7], v[18:19]
	v_mul_f64 v[2:3], v[2:3], v[8:9]
	v_add_f64 v[8:9], v[156:157], -v[114:115]
	v_fma_f64 v[172:173], v[22:23], v[6:7], -v[2:3]
	v_cndmask_b32_e64 v2, 0, 0x50, s1
	v_add_f64 v[6:7], v[132:133], -v[50:51]
	v_fma_f64 v[50:51], v[156:157], 2.0, -v[8:9]
	v_add_f64 v[22:23], v[54:55], -v[46:47]
	v_add_f64 v[114:115], v[38:39], v[8:9]
	v_or_b32_e32 v56, v2, v140
	v_mul_f64 v[2:3], v[26:27], v[98:99]
	v_lshlrev_b32_e32 v46, 3, v56
	v_fma_f64 v[44:45], v[132:133], 2.0, -v[6:7]
	v_add3_u32 v132, 0, v46, v213
	v_add_f64 v[46:47], v[152:153], -v[164:165]
	v_fma_f64 v[2:3], v[10:11], v[96:97], v[2:3]
	v_add_f64 v[120:121], v[24:25], -v[46:47]
	v_fma_f64 v[46:47], v[152:153], 2.0, -v[46:47]
	v_add_f64 v[18:19], v[142:143], -v[2:3]
	v_fma_f64 v[2:3], v[136:137], 2.0, -v[24:25]
	v_fma_f64 v[42:43], v[142:143], 2.0, -v[18:19]
	v_add_f64 v[8:9], v[2:3], -v[50:51]
	v_add_f64 v[50:51], v[18:19], v[22:23]
	v_add_f64 v[44:45], v[42:43], -v[44:45]
	v_fma_f64 v[56:57], v[114:115], s[4:5], v[50:51]
	v_add_f64 v[58:59], v[44:45], v[8:9]
	v_fma_f64 v[42:43], v[42:43], 2.0, -v[44:45]
	v_fma_f64 v[56:57], v[120:121], s[4:5], v[56:57]
	ds_write2_b64 v132, v[58:59], v[56:57] offset0:60 offset1:70
	v_fma_f64 v[58:59], v[44:45], 2.0, -v[58:59]
	v_fma_f64 v[44:45], v[134:135], 2.0, -v[38:39]
	;; [unrolled: 1-line block ×6, first 2 shown]
	v_add_f64 v[18:19], v[44:45], -v[46:47]
	ds_write2_b64 v132, v[58:59], v[56:57] offset0:20 offset1:30
	v_add_f64 v[56:57], v[36:37], -v[162:163]
	v_fma_f64 v[38:39], v[133:134], s[6:7], v[50:51]
	v_add_f64 v[46:47], v[52:53], -v[76:77]
	v_add_f64 v[76:77], v[158:159], -v[168:169]
	v_fma_f64 v[44:45], v[44:45], 2.0, -v[18:19]
	v_fma_f64 v[36:37], v[36:37], 2.0, -v[56:57]
	v_fma_f64 v[38:39], v[135:136], s[4:5], v[38:39]
	v_add_f64 v[24:25], v[42:43], -v[44:45]
	v_add_f64 v[44:45], v[106:107], -v[92:93]
	v_fma_f64 v[42:43], v[42:43], 2.0, -v[24:25]
	ds_write2_b64 v132, v[24:25], v[38:39] offset0:40 offset1:50
	v_fma_f64 v[24:25], v[50:51], 2.0, -v[38:39]
	v_add_f64 v[50:51], v[128:129], -v[122:123]
	v_fma_f64 v[92:93], v[106:107], 2.0, -v[44:45]
	ds_write2_b64 v132, v[42:43], v[24:25] offset1:10
	v_mul_lo_u16 v24, 0x50, v141
	v_mov_b32_e32 v25, 3
	v_add_f64 v[42:43], v[160:161], -v[116:117]
	v_fma_f64 v[38:39], v[128:129], 2.0, -v[50:51]
	v_mov_b32_e32 v129, 0x50
	v_or_b32_e32 v24, v24, v144
	v_lshlrev_b32_sdwa v124, v25, v24 dst_sel:DWORD dst_unused:UNUSED_PAD src0_sel:DWORD src1_sel:BYTE_0
	v_mul_f64 v[24:25], v[28:29], v[70:71]
	v_add3_u32 v128, 0, v124, v213
	v_fma_f64 v[106:107], v[160:161], 2.0, -v[42:43]
	v_add_f64 v[122:123], v[56:57], v[42:43]
	v_fma_f64 v[24:25], v[12:13], v[68:69], v[24:25]
	v_add_f64 v[42:43], v[38:39], -v[106:107]
	v_add_f64 v[24:25], v[138:139], -v[24:25]
	v_fma_f64 v[58:59], v[138:139], 2.0, -v[24:25]
	v_add_f64 v[106:107], v[24:25], v[46:47]
	v_add_f64 v[137:138], v[50:51], -v[76:77]
	v_fma_f64 v[76:77], v[158:159], 2.0, -v[76:77]
	v_add_f64 v[92:93], v[58:59], -v[92:93]
	v_fma_f64 v[116:117], v[122:123], s[4:5], v[106:107]
	v_add_f64 v[124:125], v[92:93], v[42:43]
	v_fma_f64 v[116:117], v[137:138], s[4:5], v[116:117]
	v_fma_f64 v[58:59], v[58:59], 2.0, -v[92:93]
	v_fma_f64 v[139:140], v[92:93], 2.0, -v[124:125]
	;; [unrolled: 1-line block ×4, first 2 shown]
	v_add_f64 v[24:25], v[36:37], -v[76:77]
	v_fma_f64 v[92:93], v[56:57], 2.0, -v[122:123]
	ds_write2_b64 v128, v[139:140], v[141:142] offset0:20 offset1:30
	ds_write2_b64 v128, v[124:125], v[116:117] offset0:60 offset1:70
	v_fma_f64 v[139:140], v[50:51], 2.0, -v[137:138]
	v_fma_f64 v[36:37], v[36:37], 2.0, -v[24:25]
	v_fma_f64 v[50:51], v[92:93], s[6:7], v[106:107]
	v_add_f64 v[76:77], v[74:75], -v[80:81]
	v_add_f64 v[36:37], v[58:59], -v[36:37]
	v_fma_f64 v[50:51], v[139:140], s[4:5], v[50:51]
	v_fma_f64 v[74:75], v[74:75], 2.0, -v[76:77]
	v_fma_f64 v[56:57], v[58:59], 2.0, -v[36:37]
	ds_write2_b64 v128, v[36:37], v[50:51] offset0:40 offset1:50
	v_fma_f64 v[36:37], v[106:107], 2.0, -v[50:51]
	v_add_f64 v[50:51], v[100:101], -v[78:79]
	v_add_f64 v[78:79], v[104:105], -v[82:83]
	ds_write2_b64 v128, v[56:57], v[36:37] offset1:10
	v_mul_u32_u24_sdwa v36, v174, v129 dst_sel:DWORD dst_unused:UNUSED_PAD src0_sel:WORD_0 src1_sel:DWORD
	v_add_f64 v[56:57], v[48:49], -v[66:67]
	v_add_f64 v[66:67], v[147:148], -v[102:103]
	v_fma_f64 v[82:83], v[100:101], 2.0, -v[50:51]
	v_or_b32_sdwa v116, v36, v175 dst_sel:DWORD dst_unused:UNUSED_PAD src0_sel:DWORD src1_sel:BYTE_0
	v_mul_f64 v[36:37], v[30:31], v[34:35]
	v_lshlrev_b32_e32 v100, 3, v116
	v_mul_f64 v[116:117], v[120:121], s[4:5]
	v_mul_f64 v[120:121], v[135:136], s[4:5]
	v_add_f64 v[106:107], v[76:77], v[66:67]
	v_fma_f64 v[66:67], v[147:148], 2.0, -v[66:67]
	v_fma_f64 v[36:37], v[14:15], v[32:33], v[36:37]
	v_fma_f64 v[141:142], v[76:77], 2.0, -v[106:107]
	v_add_f64 v[58:59], v[126:127], -v[36:37]
	v_add_f64 v[36:37], v[145:146], -v[94:95]
	v_fma_f64 v[80:81], v[126:127], 2.0, -v[58:59]
	v_fma_f64 v[94:95], v[145:146], 2.0, -v[36:37]
	v_add_f64 v[102:103], v[78:79], -v[36:37]
	v_add3_u32 v126, 0, v100, v213
	v_mul_f64 v[100:101], v[122:123], s[4:5]
	v_mul_f64 v[122:123], v[139:140], s[4:5]
	v_add_f64 v[82:83], v[80:81], -v[82:83]
	v_add_f64 v[36:37], v[74:75], -v[94:95]
	v_add_f64 v[94:95], v[58:59], v[56:57]
	v_fma_f64 v[143:144], v[78:79], 2.0, -v[102:103]
	v_fma_f64 v[80:81], v[80:81], 2.0, -v[82:83]
	;; [unrolled: 1-line block ×4, first 2 shown]
	v_add_f64 v[74:75], v[80:81], -v[74:75]
	v_fma_f64 v[76:77], v[141:142], s[6:7], v[58:59]
	v_fma_f64 v[80:81], v[80:81], 2.0, -v[74:75]
	v_fma_f64 v[76:77], v[143:144], s[4:5], v[76:77]
	v_fma_f64 v[58:59], v[58:59], 2.0, -v[76:77]
	ds_write2_b64 v126, v[80:81], v[58:59] offset1:10
	v_fma_f64 v[58:59], v[104:105], 2.0, -v[78:79]
	v_fma_f64 v[78:79], v[106:107], s[4:5], v[94:95]
	v_add_f64 v[66:67], v[58:59], -v[66:67]
	v_fma_f64 v[78:79], v[102:103], s[4:5], v[78:79]
	v_add_f64 v[80:81], v[82:83], v[66:67]
	v_fma_f64 v[94:95], v[94:95], 2.0, -v[78:79]
	v_fma_f64 v[82:83], v[82:83], 2.0, -v[80:81]
	ds_write2_b64 v126, v[82:83], v[94:95] offset0:20 offset1:30
	ds_write2_b64 v126, v[74:75], v[76:77] offset0:40 offset1:50
	ds_write2_b64 v126, v[80:81], v[78:79] offset0:60 offset1:70
	v_add_f64 v[74:75], v[60:61], -v[112:113]
	v_add_f64 v[76:77], v[86:87], -v[118:119]
	;; [unrolled: 1-line block ×4, first 2 shown]
	v_mul_f64 v[94:95], v[114:115], s[4:5]
	v_mul_f64 v[118:119], v[137:138], s[4:5]
	;; [unrolled: 1-line block ×5, first 2 shown]
	v_fma_f64 v[82:83], v[60:61], 2.0, -v[74:75]
	v_fma_f64 v[86:87], v[86:87], 2.0, -v[76:77]
	v_add_f64 v[104:105], v[78:79], v[76:77]
	v_add_f64 v[145:146], v[80:81], -v[74:75]
	v_fma_f64 v[124:125], v[149:150], 2.0, -v[78:79]
	v_fma_f64 v[74:75], v[154:155], 2.0, -v[80:81]
	v_mul_f64 v[60:61], v[106:107], s[4:5]
	v_mul_f64 v[106:107], v[92:93], s[4:5]
	v_fma_f64 v[147:148], v[78:79], 2.0, -v[104:105]
	v_fma_f64 v[149:150], v[80:81], 2.0, -v[145:146]
	v_add_f64 v[80:81], v[40:41], -v[88:89]
	v_add_f64 v[76:77], v[124:125], -v[82:83]
	;; [unrolled: 1-line block ×3, first 2 shown]
	v_mul_f64 v[78:79], v[104:105], s[4:5]
	v_mul_f64 v[104:105], v[133:134], s[4:5]
	;; [unrolled: 1-line block ×5, first 2 shown]
	s_and_saveexec_b32 s1, s0
	s_cbranch_execz .LBB0_19
; %bb.18:
	v_mul_f64 v[133:134], v[20:21], v[64:65]
	v_fma_f64 v[40:41], v[40:41], 2.0, -v[80:81]
	v_fma_f64 v[124:125], v[124:125], 2.0, -v[76:77]
	v_mul_u32_u24_sdwa v127, v130, v129 dst_sel:DWORD dst_unused:UNUSED_PAD src0_sel:WORD_0 src1_sel:DWORD
	v_or_b32_sdwa v127, v127, v131 dst_sel:DWORD dst_unused:UNUSED_PAD src0_sel:DWORD src1_sel:BYTE_0
	v_lshlrev_b32_e32 v127, 3, v127
	v_add3_u32 v127, 0, v127, v213
	v_fma_f64 v[133:134], v[0:1], v[62:63], v[133:134]
	v_add_f64 v[133:134], v[4:5], -v[133:134]
	v_add_f64 v[135:136], v[133:134], v[84:85]
	v_fma_f64 v[4:5], v[4:5], 2.0, -v[133:134]
	v_fma_f64 v[133:134], v[133:134], 2.0, -v[135:136]
	v_add_f64 v[40:41], v[4:5], -v[40:41]
	v_add_f64 v[137:138], v[135:136], v[78:79]
	v_add_f64 v[139:140], v[133:134], -v[82:83]
	v_fma_f64 v[4:5], v[4:5], 2.0, -v[40:41]
	v_add_f64 v[137:138], v[92:93], v[137:138]
	v_add_f64 v[141:142], v[40:41], v[88:89]
	;; [unrolled: 1-line block ×3, first 2 shown]
	v_add_f64 v[124:125], v[4:5], -v[124:125]
	v_fma_f64 v[135:136], v[135:136], 2.0, -v[137:138]
	v_fma_f64 v[40:41], v[40:41], 2.0, -v[141:142]
	;; [unrolled: 1-line block ×4, first 2 shown]
	ds_write2_b64 v127, v[40:41], v[135:136] offset0:20 offset1:30
	ds_write2_b64 v127, v[124:125], v[139:140] offset0:40 offset1:50
	ds_write2_b64 v127, v[4:5], v[133:134] offset1:10
	ds_write2_b64 v127, v[141:142], v[137:138] offset0:60 offset1:70
.LBB0_19:
	s_or_b32 exec_lo, exec_lo, s1
	v_mul_f64 v[4:5], v[10:11], v[98:99]
	v_mul_f64 v[10:11], v[12:13], v[70:71]
	;; [unrolled: 1-line block ×3, first 2 shown]
	v_fma_f64 v[14:15], v[54:55], 2.0, -v[22:23]
	v_fma_f64 v[22:23], v[52:53], 2.0, -v[46:47]
	;; [unrolled: 1-line block ×3, first 2 shown]
	s_waitcnt lgkmcnt(0)
	s_barrier
	buffer_gl0_inv
	v_fma_f64 v[4:5], v[26:27], v[96:97], -v[4:5]
	v_fma_f64 v[10:11], v[28:29], v[68:69], -v[10:11]
	v_fma_f64 v[12:13], v[30:31], v[32:33], -v[12:13]
	v_fma_f64 v[28:29], v[48:49], 2.0, -v[56:57]
	v_add_f64 v[4:5], v[90:91], -v[4:5]
	v_add_f64 v[10:11], v[110:111], -v[10:11]
	;; [unrolled: 1-line block ×3, first 2 shown]
	v_fma_f64 v[26:27], v[90:91], 2.0, -v[4:5]
	v_add_f64 v[52:53], v[4:5], -v[6:7]
	v_fma_f64 v[30:31], v[108:109], 2.0, -v[12:13]
	v_fma_f64 v[6:7], v[110:111], 2.0, -v[10:11]
	v_add_f64 v[68:69], v[10:11], -v[44:45]
	v_add_f64 v[50:51], v[12:13], -v[50:51]
	v_add_nc_u32_e32 v91, 0x800, v210
	v_add3_u32 v90, 0, v214, v213
	v_add_f64 v[14:15], v[26:27], -v[14:15]
	v_fma_f64 v[70:71], v[4:5], 2.0, -v[52:53]
	v_add_f64 v[108:109], v[30:31], -v[28:29]
	v_add_f64 v[96:97], v[6:7], -v[22:23]
	v_fma_f64 v[98:99], v[10:11], 2.0, -v[68:69]
	v_fma_f64 v[110:111], v[12:13], 2.0, -v[50:51]
	v_add_f64 v[12:13], v[52:53], v[116:117]
	v_fma_f64 v[22:23], v[38:39], 2.0, -v[42:43]
	v_add_f64 v[28:29], v[68:69], v[118:119]
	v_add_f64 v[38:39], v[50:51], v[112:113]
	v_fma_f64 v[10:11], v[2:3], 2.0, -v[8:9]
	v_fma_f64 v[116:117], v[26:27], 2.0, -v[14:15]
	v_add_f64 v[26:27], v[70:71], -v[120:121]
	v_fma_f64 v[58:59], v[30:31], 2.0, -v[108:109]
	v_fma_f64 v[118:119], v[6:7], 2.0, -v[96:97]
	v_add_f64 v[32:33], v[98:99], -v[122:123]
	v_add_f64 v[30:31], v[110:111], -v[114:115]
	;; [unrolled: 1-line block ×8, first 2 shown]
	ds_read2_b64 v[2:5], v210 offset0:64 offset1:80
	ds_read2_b64 v[6:9], v210 offset0:160 offset1:176
	;; [unrolled: 1-line block ×3, first 2 shown]
	v_add_f64 v[120:121], v[116:117], -v[10:11]
	v_add_f64 v[104:105], v[26:27], -v[104:105]
	;; [unrolled: 1-line block ×6, first 2 shown]
	ds_read2_b64 v[10:13], v210 offset0:96 offset1:112
	ds_read2_b64 v[34:37], v210 offset0:192 offset1:208
	;; [unrolled: 1-line block ×5, first 2 shown]
	ds_read2_b64 v[22:25], v91 offset1:16
	ds_read2_b64 v[30:33], v91 offset0:160 offset1:176
	ds_read2_b64 v[38:41], v91 offset0:96 offset1:112
	v_fma_f64 v[137:138], v[52:53], 2.0, -v[94:95]
	v_fma_f64 v[139:140], v[68:69], 2.0, -v[100:101]
	;; [unrolled: 1-line block ×9, first 2 shown]
	ds_read_b64 v[70:71], v209
	ds_read_b64 v[18:19], v211
	;; [unrolled: 1-line block ×4, first 2 shown]
	ds_read2_b64 v[58:61], v91 offset0:32 offset1:48
	ds_read2_b64 v[50:53], v91 offset0:192 offset1:208
	v_fma_f64 v[118:119], v[118:119], 2.0, -v[122:123]
	v_fma_f64 v[98:99], v[98:99], 2.0, -v[106:107]
	;; [unrolled: 1-line block ×3, first 2 shown]
	s_waitcnt lgkmcnt(0)
	s_barrier
	buffer_gl0_inv
	ds_write2_b64 v132, v[112:113], v[94:95] offset0:60 offset1:70
	ds_write2_b64 v132, v[14:15], v[137:138] offset0:20 offset1:30
	;; [unrolled: 1-line block ×3, first 2 shown]
	ds_write2_b64 v132, v[116:117], v[141:142] offset1:10
	ds_write2_b64 v128, v[118:119], v[98:99] offset1:10
	ds_write2_b64 v128, v[96:97], v[139:140] offset0:20 offset1:30
	ds_write2_b64 v128, v[122:123], v[106:107] offset0:40 offset1:50
	;; [unrolled: 1-line block ×3, first 2 shown]
	ds_write2_b64 v126, v[145:146], v[110:111] offset1:10
	ds_write2_b64 v126, v[108:109], v[143:144] offset0:20 offset1:30
	ds_write2_b64 v126, v[135:136], v[102:103] offset0:40 offset1:50
	;; [unrolled: 1-line block ×3, first 2 shown]
	s_and_saveexec_b32 s1, s0
	s_cbranch_execz .LBB0_21
; %bb.20:
	v_mul_f64 v[0:1], v[0:1], v[64:65]
	v_fma_f64 v[14:15], v[72:73], 2.0, -v[84:85]
	v_fma_f64 v[0:1], v[20:21], v[62:63], -v[0:1]
	v_fma_f64 v[62:63], v[74:75], 2.0, -v[88:89]
	v_add_f64 v[0:1], v[16:17], -v[0:1]
	v_fma_f64 v[16:17], v[16:17], 2.0, -v[0:1]
	v_add_f64 v[20:21], v[0:1], -v[80:81]
	v_add_f64 v[14:15], v[16:17], -v[14:15]
	v_fma_f64 v[0:1], v[0:1], 2.0, -v[20:21]
	v_add_f64 v[64:65], v[20:21], v[92:93]
	v_fma_f64 v[16:17], v[16:17], 2.0, -v[14:15]
	v_add_f64 v[72:73], v[0:1], -v[86:87]
	v_add_f64 v[74:75], v[14:15], -v[76:77]
	;; [unrolled: 1-line block ×3, first 2 shown]
	v_mov_b32_e32 v76, 0x50
	v_mul_u32_u24_sdwa v76, v130, v76 dst_sel:DWORD dst_unused:UNUSED_PAD src0_sel:WORD_0 src1_sel:DWORD
	v_or_b32_sdwa v76, v76, v131 dst_sel:DWORD dst_unused:UNUSED_PAD src0_sel:DWORD src1_sel:BYTE_0
	v_lshlrev_b32_e32 v76, 3, v76
	v_add_f64 v[62:63], v[16:17], -v[62:63]
	v_add_f64 v[72:73], v[72:73], -v[82:83]
	v_fma_f64 v[14:15], v[14:15], 2.0, -v[74:75]
	v_fma_f64 v[20:21], v[20:21], 2.0, -v[64:65]
	v_add3_u32 v76, 0, v76, v213
	v_fma_f64 v[16:17], v[16:17], 2.0, -v[62:63]
	v_fma_f64 v[0:1], v[0:1], 2.0, -v[72:73]
	ds_write2_b64 v76, v[14:15], v[20:21] offset0:20 offset1:30
	ds_write2_b64 v76, v[62:63], v[72:73] offset0:40 offset1:50
	ds_write2_b64 v76, v[16:17], v[0:1] offset1:10
	ds_write2_b64 v76, v[74:75], v[64:65] offset0:60 offset1:70
.LBB0_21:
	s_or_b32 exec_lo, exec_lo, s1
	s_waitcnt lgkmcnt(0)
	s_barrier
	buffer_gl0_inv
	s_and_saveexec_b32 s0, vcc_lo
	s_cbranch_execz .LBB0_23
; %bb.22:
	v_mul_u32_u24_e32 v0, 5, v208
	v_or_b32_e32 v1, 64, v208
	v_add_nc_u32_e32 v221, 0x800, v210
	v_or_b32_e32 v235, 0x1500, v204
	v_or_b32_e32 v237, 0x1a00, v204
	v_lshlrev_b32_e32 v20, 4, v0
	v_mul_u32_u24_e32 v0, 5, v1
	v_mov_b32_e32 v1, 0
	v_or_b32_e32 v239, 0xc00, v204
	v_or_b32_e32 v240, 0x1100, v204
	global_load_dwordx4 v[72:75], v20, s[8:9] offset:1152
	v_lshlrev_b32_e32 v16, 4, v0
	v_mul_i32_i24_e32 v0, 5, v207
	v_or_b32_e32 v241, 0x1600, v204
	v_or_b32_e32 v242, 0x1b00, v204
	s_clause 0x2
	global_load_dwordx4 v[76:79], v16, s[8:9] offset:1136
	global_load_dwordx4 v[80:83], v20, s[8:9] offset:1184
	;; [unrolled: 1-line block ×3, first 2 shown]
	v_lshlrev_b64 v[14:15], 4, v[0:1]
	global_load_dwordx4 v[91:94], v16, s[8:9] offset:1152
	v_mul_i32_i24_e32 v0, 5, v206
	v_or_b32_e32 v243, 0x800, v204
	v_or_b32_e32 v244, 0xd00, v204
	s_mov_b32 s4, 0xe8584caa
	v_add_co_u32 v14, vcc_lo, s8, v14
	v_add_co_ci_u32_e32 v15, vcc_lo, s9, v15, vcc_lo
	s_mov_b32 s5, 0xbfebb67a
	s_clause 0x9
	global_load_dwordx4 v[95:98], v[14:15], off offset:1152
	global_load_dwordx4 v[99:102], v16, s[8:9] offset:1184
	global_load_dwordx4 v[103:106], v[14:15], off offset:1184
	global_load_dwordx4 v[107:110], v16, s[8:9] offset:1120
	;; [unrolled: 2-line block ×3, first 2 shown]
	global_load_dwordx4 v[119:122], v20, s[8:9] offset:1168
	global_load_dwordx4 v[123:126], v20, s[8:9] offset:1120
	global_load_dwordx4 v[127:130], v[14:15], off offset:1168
	global_load_dwordx4 v[131:134], v[14:15], off offset:1136
	v_lshlrev_b64 v[16:17], 4, v[0:1]
	v_mul_i32_i24_e32 v0, 5, v205
	s_mov_b32 s1, 0x3febb67a
	s_mov_b32 s0, s4
	v_or_b32_e32 v245, 0x1200, v204
	v_or_b32_e32 v246, 0x1700, v204
	v_lshlrev_b64 v[0:1], 4, v[0:1]
	v_add_co_u32 v14, vcc_lo, s8, v16
	v_add_co_ci_u32_e32 v15, vcc_lo, s9, v17, vcc_lo
	s_clause 0x1
	global_load_dwordx4 v[135:138], v[14:15], off offset:1136
	global_load_dwordx4 v[139:142], v[14:15], off offset:1168
	v_add_co_u32 v0, vcc_lo, s8, v0
	v_add_co_ci_u32_e32 v1, vcc_lo, s9, v1, vcc_lo
	s_clause 0x7
	global_load_dwordx4 v[143:146], v[14:15], off offset:1152
	global_load_dwordx4 v[147:150], v[14:15], off offset:1120
	;; [unrolled: 1-line block ×8, first 2 shown]
	ds_read2_b64 v[14:17], v210 offset0:64 offset1:80
	ds_read2_b64 v[180:183], v210 offset0:224 offset1:240
	;; [unrolled: 1-line block ×6, first 2 shown]
	ds_read_b64 v[62:63], v90
	ds_read_b64 v[20:21], v212
	;; [unrolled: 1-line block ×4, first 2 shown]
	v_add_co_u32 v64, vcc_lo, s2, v166
	ds_read2_b64 v[163:166], v221 offset0:128 offset1:144
	ds_read2_b64 v[200:203], v221 offset0:32 offset1:48
	;; [unrolled: 1-line block ×4, first 2 shown]
	ds_read2_b64 v[213:216], v221 offset1:16
	ds_read2_b64 v[217:220], v221 offset0:160 offset1:176
	ds_read2_b64 v[221:224], v221 offset0:64 offset1:80
	v_add_co_ci_u32_e32 v65, vcc_lo, s3, v167, vcc_lo
	v_or_b32_e32 v90, 0xb00, v204
	v_add_co_u32 v227, vcc_lo, v64, v204
	v_or_b32_e32 v167, 0x1000, v204
	v_add_co_ci_u32_e32 v228, vcc_lo, 0, v65, vcc_lo
	v_add_co_u32 v231, vcc_lo, v64, v90
	v_add_co_ci_u32_e32 v232, vcc_lo, 0, v65, vcc_lo
	v_add_co_u32 v233, vcc_lo, v64, v167
	;; [unrolled: 2-line block ×4, first 2 shown]
	v_add_co_ci_u32_e32 v238, vcc_lo, 0, v65, vcc_lo
	v_or_b32_e32 v247, 0x1c00, v204
	v_or_b32_e32 v248, 0x900, v204
	;; [unrolled: 1-line block ×3, first 2 shown]
	s_waitcnt vmcnt(24) lgkmcnt(15)
	v_mul_f64 v[225:226], v[74:75], v[182:183]
	v_mul_f64 v[74:75], v[48:49], v[74:75]
	s_waitcnt vmcnt(23)
	v_mul_f64 v[229:230], v[46:47], v[78:79]
	v_mul_f64 v[78:79], v[180:181], v[78:79]
	v_fma_f64 v[48:49], v[48:49], v[72:73], v[225:226]
	v_fma_f64 v[72:73], v[72:73], v[182:183], -v[74:75]
	s_waitcnt vmcnt(22) lgkmcnt(6)
	v_mul_f64 v[74:75], v[82:83], v[165:166]
	v_mul_f64 v[82:83], v[56:57], v[82:83]
	v_fma_f64 v[180:181], v[76:77], v[180:181], -v[229:230]
	s_waitcnt vmcnt(21)
	v_mul_f64 v[229:230], v[54:55], v[86:87]
	v_fma_f64 v[46:47], v[46:47], v[76:77], v[78:79]
	v_mul_f64 v[76:77], v[163:164], v[86:87]
	s_waitcnt vmcnt(20) lgkmcnt(5)
	v_mul_f64 v[78:79], v[93:94], v[202:203]
	v_add_co_u32 v182, vcc_lo, v64, v239
	v_add_co_ci_u32_e32 v183, vcc_lo, 0, v65, vcc_lo
	v_add_co_u32 v225, vcc_lo, v64, v240
	v_add_co_ci_u32_e32 v226, vcc_lo, 0, v65, vcc_lo
	;; [unrolled: 2-line block ×4, first 2 shown]
	v_fma_f64 v[56:57], v[56:57], v[80:81], v[74:75]
	v_fma_f64 v[74:75], v[80:81], v[165:166], -v[82:83]
	v_mul_f64 v[80:81], v[60:61], v[93:94]
	s_waitcnt vmcnt(19)
	v_mul_f64 v[82:83], v[97:98], v[200:201]
	v_fma_f64 v[163:164], v[84:85], v[163:164], -v[229:230]
	v_mul_f64 v[97:98], v[58:59], v[97:98]
	v_fma_f64 v[54:55], v[54:55], v[84:85], v[76:77]
	s_waitcnt vmcnt(18) lgkmcnt(4)
	v_mul_f64 v[76:77], v[101:102], v[207:208]
	v_mul_f64 v[84:85], v[52:53], v[101:102]
	v_add_co_u32 v86, vcc_lo, v64, v243
	v_add_co_ci_u32_e32 v87, vcc_lo, 0, v65, vcc_lo
	v_add_co_u32 v93, vcc_lo, v64, v244
	s_waitcnt vmcnt(17)
	v_mul_f64 v[243:244], v[105:106], v[205:206]
	v_fma_f64 v[60:61], v[60:61], v[91:92], v[78:79]
	v_add_co_ci_u32_e32 v94, vcc_lo, 0, v65, vcc_lo
	v_add_co_u32 v165, vcc_lo, v64, v245
	v_add_co_ci_u32_e32 v166, vcc_lo, 0, v65, vcc_lo
	v_add_co_u32 v229, vcc_lo, v64, v246
	v_fma_f64 v[78:79], v[91:92], v[202:203], -v[80:81]
	v_mul_f64 v[80:81], v[50:51], v[105:106]
	v_fma_f64 v[58:59], v[58:59], v[95:96], v[82:83]
	s_waitcnt vmcnt(16)
	v_mul_f64 v[82:83], v[109:110], v[186:187]
	v_mul_f64 v[105:106], v[44:45], v[109:110]
	v_fma_f64 v[95:96], v[95:96], v[200:201], -v[97:98]
	s_waitcnt vmcnt(15)
	v_mul_f64 v[97:98], v[113:114], v[184:185]
	v_mul_f64 v[109:110], v[42:43], v[113:114]
	s_waitcnt vmcnt(14)
	v_mul_f64 v[200:201], v[6:7], v[117:118]
	v_fma_f64 v[52:53], v[52:53], v[99:100], v[76:77]
	v_fma_f64 v[76:77], v[99:100], v[207:208], -v[84:85]
	v_mul_f64 v[99:100], v[196:197], v[117:118]
	s_waitcnt vmcnt(13)
	v_mul_f64 v[84:85], v[26:27], v[121:122]
	s_waitcnt lgkmcnt(0)
	v_mul_f64 v[117:118], v[221:222], v[121:122]
	v_fma_f64 v[50:51], v[50:51], v[103:104], v[243:244]
	s_waitcnt vmcnt(12)
	v_mul_f64 v[121:122], v[4:5], v[123:124]
	v_mul_f64 v[4:5], v[4:5], v[125:126]
	s_waitcnt vmcnt(11)
	v_mul_f64 v[202:203], v[40:41], v[129:130]
	v_add_co_ci_u32_e32 v230, vcc_lo, 0, v65, vcc_lo
	v_add_co_u32 v101, vcc_lo, v64, v247
	v_add_co_ci_u32_e32 v102, vcc_lo, 0, v65, vcc_lo
	v_fma_f64 v[80:81], v[103:104], v[205:206], -v[80:81]
	v_fma_f64 v[44:45], v[44:45], v[107:108], v[82:83]
	v_fma_f64 v[82:83], v[107:108], v[186:187], -v[105:106]
	v_mul_f64 v[105:106], v[211:212], v[129:130]
	s_waitcnt vmcnt(10)
	v_mul_f64 v[103:104], v[36:37], v[133:134]
	v_mul_f64 v[133:134], v[190:191], v[133:134]
	s_waitcnt vmcnt(9)
	v_mul_f64 v[107:108], v[34:35], v[137:138]
	v_fma_f64 v[42:43], v[42:43], v[111:112], v[97:98]
	s_waitcnt vmcnt(8)
	v_mul_f64 v[97:98], v[38:39], v[141:142]
	v_fma_f64 v[109:110], v[111:112], v[184:185], -v[109:110]
	v_mul_f64 v[111:112], v[209:210], v[141:142]
	s_waitcnt vmcnt(7)
	v_mul_f64 v[141:142], v[145:146], v[215:216]
	s_waitcnt vmcnt(5)
	v_mul_f64 v[184:185], v[153:154], v[219:220]
	v_fma_f64 v[186:187], v[196:197], v[115:116], -v[200:201]
	v_fma_f64 v[6:7], v[6:7], v[115:116], v[99:100]
	v_mul_f64 v[99:100], v[24:25], v[145:146]
	v_mul_f64 v[115:116], v[32:33], v[153:154]
	;; [unrolled: 1-line block ×4, first 2 shown]
	v_fma_f64 v[84:85], v[119:120], v[221:222], -v[84:85]
	v_fma_f64 v[26:27], v[26:27], v[119:120], v[117:118]
	v_mul_f64 v[117:118], v[12:13], v[149:150]
	s_waitcnt vmcnt(4)
	v_mul_f64 v[119:120], v[8:9], v[157:158]
	s_waitcnt vmcnt(1)
	;; [unrolled: 2-line block ×3, first 2 shown]
	v_mul_f64 v[149:150], v[30:31], v[178:179]
	v_fma_f64 v[40:41], v[40:41], v[127:128], v[105:106]
	v_mul_f64 v[105:106], v[174:175], v[213:214]
	v_fma_f64 v[121:122], v[16:17], v[125:126], v[121:122]
	v_fma_f64 v[4:5], v[16:17], v[123:124], -v[4:5]
	v_mul_f64 v[16:17], v[28:29], v[161:162]
	v_mul_f64 v[123:124], v[198:199], v[157:158]
	v_fma_f64 v[103:104], v[131:132], v[190:191], -v[103:104]
	v_fma_f64 v[36:37], v[36:37], v[131:132], v[133:134]
	v_mul_f64 v[125:126], v[223:224], v[161:162]
	v_mul_f64 v[131:132], v[170:171], v[192:193]
	v_fma_f64 v[133:134], v[127:128], v[211:212], -v[202:203]
	v_mul_f64 v[127:128], v[178:179], v[217:218]
	v_mul_f64 v[153:154], v[10:11], v[170:171]
	v_fma_f64 v[107:108], v[135:136], v[188:189], -v[107:108]
	v_fma_f64 v[97:98], v[139:140], v[209:210], -v[97:98]
	v_fma_f64 v[38:39], v[38:39], v[139:140], v[111:112]
	v_fma_f64 v[24:25], v[24:25], v[143:144], v[141:142]
	;; [unrolled: 1-line block ×3, first 2 shown]
	v_fma_f64 v[99:100], v[143:144], v[215:216], -v[99:100]
	v_fma_f64 v[111:112], v[151:152], v[219:220], -v[115:116]
	v_fma_f64 v[34:35], v[34:35], v[135:136], v[129:130]
	v_fma_f64 v[12:13], v[12:13], v[147:148], v[137:138]
	v_fma_f64 v[115:116], v[147:148], v[194:195], -v[117:118]
	v_fma_f64 v[117:118], v[155:156], v[198:199], -v[119:120]
	v_fma_f64 v[22:23], v[22:23], v[172:173], v[105:106]
	v_fma_f64 v[105:106], v[172:173], v[213:214], -v[145:146]
	v_fma_f64 v[119:120], v[176:177], v[217:218], -v[149:150]
	;; [unrolled: 1-line block ×3, first 2 shown]
	v_fma_f64 v[8:9], v[8:9], v[155:156], v[123:124]
	v_add_f64 v[135:136], v[72:73], v[74:75]
	v_fma_f64 v[28:29], v[28:29], v[159:160], v[125:126]
	v_fma_f64 v[10:11], v[10:11], v[168:169], v[131:132]
	v_add_f64 v[125:126], v[186:187], v[84:85]
	v_fma_f64 v[30:31], v[30:31], v[176:177], v[127:128]
	v_fma_f64 v[123:124], v[168:169], v[192:193], -v[153:154]
	v_add_f64 v[127:128], v[6:7], -v[26:27]
	v_add_f64 v[129:130], v[48:49], v[56:57]
	v_add_f64 v[131:132], v[72:73], -v[74:75]
	v_add_f64 v[137:138], v[48:49], -v[56:57]
	v_add_f64 v[139:140], v[88:89], v[186:187]
	v_add_f64 v[72:73], v[4:5], v[72:73]
	;; [unrolled: 1-line block ×6, first 2 shown]
	v_add_f64 v[147:148], v[46:47], -v[54:55]
	v_add_f64 v[149:150], v[60:61], v[52:53]
	v_add_f64 v[151:152], v[78:79], -v[76:77]
	v_add_f64 v[153:154], v[78:79], v[76:77]
	;; [unrolled: 2-line block ×3, first 2 shown]
	v_add_f64 v[78:79], v[82:83], v[78:79]
	v_add_f64 v[161:162], v[46:47], v[54:55]
	;; [unrolled: 1-line block ×5, first 2 shown]
	v_add_f64 v[143:144], v[186:187], -v[84:85]
	v_add_f64 v[167:168], v[180:181], -v[163:164]
	v_add_f64 v[169:170], v[103:104], v[133:134]
	v_add_f64 v[171:172], v[36:37], -v[40:41]
	v_add_f64 v[173:174], v[58:59], v[50:51]
	v_add_f64 v[175:176], v[95:96], -v[80:81]
	v_add_f64 v[179:180], v[58:59], -v[50:51]
	v_add_f64 v[184:185], v[62:63], v[103:104]
	v_add_f64 v[95:96], v[109:110], v[95:96]
	;; [unrolled: 1-line block ×8, first 2 shown]
	v_add_f64 v[190:191], v[34:35], -v[38:39]
	v_add_f64 v[194:195], v[99:100], -v[111:112]
	;; [unrolled: 1-line block ×3, first 2 shown]
	v_add_f64 v[200:201], v[20:21], v[107:108]
	v_add_f64 v[99:100], v[115:116], v[99:100]
	;; [unrolled: 1-line block ×7, first 2 shown]
	v_add_f64 v[207:208], v[8:9], -v[28:29]
	v_add_f64 v[209:210], v[22:23], v[30:31]
	v_add_f64 v[211:212], v[105:106], -v[119:120]
	v_add_f64 v[215:216], v[22:23], -v[30:31]
	v_add_f64 v[217:218], v[0:1], v[117:118]
	v_add_f64 v[105:106], v[123:124], v[105:106]
	;; [unrolled: 1-line block ×5, first 2 shown]
	v_fma_f64 v[88:89], v[125:126], -0.5, v[88:89]
	v_fma_f64 v[4:5], v[135:136], -0.5, v[4:5]
	v_add_f64 v[84:85], v[139:140], v[84:85]
	v_add_f64 v[72:73], v[72:73], v[74:75]
	;; [unrolled: 1-line block ×4, first 2 shown]
	v_fma_f64 v[14:15], v[145:146], -0.5, v[14:15]
	v_fma_f64 v[56:57], v[153:154], -0.5, v[82:83]
	v_add_f64 v[74:75], v[159:160], v[163:164]
	v_add_f64 v[76:77], v[78:79], v[76:77]
	;; [unrolled: 1-line block ×4, first 2 shown]
	v_fma_f64 v[60:61], v[177:178], -0.5, v[109:110]
	v_fma_f64 v[78:79], v[161:162], -0.5, v[2:3]
	;; [unrolled: 1-line block ×3, first 2 shown]
	v_add_f64 v[62:63], v[184:185], v[133:134]
	v_add_f64 v[80:81], v[95:96], v[80:81]
	;; [unrolled: 1-line block ×4, first 2 shown]
	v_fma_f64 v[50:51], v[188:189], -0.5, v[20:21]
	v_fma_f64 v[58:59], v[192:193], -0.5, v[12:13]
	;; [unrolled: 1-line block ×3, first 2 shown]
	v_add_f64 v[103:104], v[103:104], -v[133:134]
	v_add_f64 v[107:108], v[107:108], -v[97:98]
	v_fma_f64 v[68:69], v[186:187], -0.5, v[68:69]
	v_add_f64 v[95:96], v[200:201], v[97:98]
	v_add_f64 v[97:98], v[99:100], v[111:112]
	;; [unrolled: 1-line block ×4, first 2 shown]
	v_fma_f64 v[109:110], v[213:214], -0.5, v[123:124]
	v_fma_f64 v[121:122], v[129:130], -0.5, v[121:122]
	;; [unrolled: 1-line block ×4, first 2 shown]
	v_add_f64 v[111:112], v[217:218], v[16:17]
	v_add_f64 v[105:106], v[105:106], v[119:120]
	;; [unrolled: 1-line block ×4, first 2 shown]
	v_fma_f64 v[125:126], v[127:128], s[4:5], v[88:89]
	v_fma_f64 v[88:89], v[127:128], s[0:1], v[88:89]
	;; [unrolled: 1-line block ×3, first 2 shown]
	v_add_f64 v[117:118], v[117:118], -v[16:17]
	v_fma_f64 v[115:116], v[219:220], -0.5, v[18:19]
	v_fma_f64 v[133:134], v[137:138], s[4:5], v[4:5]
	v_fma_f64 v[44:45], v[149:150], -0.5, v[44:45]
	v_fma_f64 v[42:43], v[173:174], -0.5, v[42:43]
	;; [unrolled: 1-line block ×3, first 2 shown]
	v_add_f64 v[2:3], v[84:85], -v[72:73]
	v_add_f64 v[6:7], v[84:85], v[72:73]
	v_add_f64 v[4:5], v[26:27], v[48:49]
	v_fma_f64 v[84:85], v[147:148], s[4:5], v[14:15]
	v_fma_f64 v[72:73], v[155:156], s[4:5], v[56:57]
	;; [unrolled: 1-line block ×4, first 2 shown]
	v_add_f64 v[10:11], v[74:75], -v[76:77]
	v_add_f64 v[14:15], v[74:75], v[76:77]
	v_add_f64 v[12:13], v[46:47], v[52:53]
	v_fma_f64 v[74:75], v[179:180], s[4:5], v[60:61]
	v_fma_f64 v[60:61], v[179:180], s[0:1], v[60:61]
	v_add_f64 v[0:1], v[26:27], -v[48:49]
	v_fma_f64 v[137:138], v[167:168], s[0:1], v[78:79]
	v_fma_f64 v[139:140], v[167:168], s[4:5], v[78:79]
	v_add_f64 v[18:19], v[62:63], -v[80:81]
	v_add_f64 v[16:17], v[36:37], -v[40:41]
	v_add_f64 v[22:23], v[62:63], v[80:81]
	v_add_f64 v[20:21], v[36:37], v[40:41]
	v_fma_f64 v[62:63], v[190:191], s[4:5], v[50:51]
	v_fma_f64 v[40:41], v[194:195], s[0:1], v[58:59]
	;; [unrolled: 1-line block ×8, first 2 shown]
	v_add_f64 v[30:31], v[95:96], v[97:98]
	v_add_f64 v[28:29], v[34:35], v[32:33]
	v_fma_f64 v[103:104], v[215:216], s[4:5], v[109:110]
	v_fma_f64 v[109:110], v[215:216], s[0:1], v[109:110]
	v_add_f64 v[26:27], v[95:96], -v[97:98]
	v_add_f64 v[24:25], v[34:35], -v[32:33]
	v_add_co_u32 v90, vcc_lo, 0x800, v227
	v_add_co_ci_u32_e32 v91, vcc_lo, 0, v228, vcc_lo
	v_fma_f64 v[70:71], v[141:142], -0.5, v[70:71]
	v_fma_f64 v[129:130], v[131:132], s[0:1], v[121:122]
	v_fma_f64 v[121:122], v[131:132], s[4:5], v[121:122]
	;; [unrolled: 1-line block ×6, first 2 shown]
	v_add_f64 v[34:35], v[111:112], -v[105:106]
	v_add_f64 v[32:33], v[119:120], -v[123:124]
	v_add_f64 v[38:39], v[111:112], v[105:106]
	v_add_f64 v[36:37], v[119:120], v[123:124]
	v_mul_f64 v[111:112], v[127:128], 0.5
	v_mul_f64 v[119:120], v[127:128], s[4:5]
	v_fma_f64 v[141:142], v[117:118], s[0:1], v[115:116]
	v_fma_f64 v[115:116], v[117:118], s[4:5], v[115:116]
	v_mul_f64 v[105:106], v[133:134], -0.5
	v_mul_f64 v[117:118], v[133:134], s[4:5]
	v_fma_f64 v[48:49], v[151:152], s[0:1], v[44:45]
	v_fma_f64 v[44:45], v[151:152], s[4:5], v[44:45]
	v_add_f64 v[8:9], v[46:47], -v[52:53]
	v_fma_f64 v[52:53], v[175:176], s[0:1], v[42:43]
	v_fma_f64 v[42:43], v[175:176], s[4:5], v[42:43]
	global_store_dwordx4 v[227:228], v[4:7], off
	global_store_dwordx4 v[90:91], v[0:3], off offset:1792
	v_mul_f64 v[0:1], v[72:73], -0.5
	v_mul_f64 v[2:3], v[56:57], 0.5
	v_mul_f64 v[4:5], v[72:73], s[4:5]
	v_mul_f64 v[6:7], v[56:57], s[4:5]
	global_store_dwordx4 v[227:228], v[12:15], off offset:1024
	v_mul_f64 v[12:13], v[74:75], -0.5
	v_mul_f64 v[14:15], v[60:61], 0.5
	v_mul_f64 v[56:57], v[74:75], s[4:5]
	v_mul_f64 v[60:61], v[60:61], s[4:5]
	global_store_dwordx4 v[227:228], v[20:23], off offset:768
	global_store_dwordx4 v[165:166], v[16:19], off
	v_mul_f64 v[16:17], v[78:79], -0.5
	v_mul_f64 v[18:19], v[58:59], 0.5
	v_mul_f64 v[22:23], v[58:59], s[4:5]
	v_mul_f64 v[20:21], v[78:79], s[4:5]
	v_fma_f64 v[97:98], v[211:212], s[0:1], v[99:100]
	v_fma_f64 v[99:100], v[211:212], s[4:5], v[99:100]
	global_store_dwordx4 v[227:228], v[28:31], off offset:512
	global_store_dwordx4 v[225:226], v[24:27], off
	v_mul_f64 v[26:27], v[109:110], 0.5
	v_mul_f64 v[30:31], v[109:110], s[4:5]
	v_mul_f64 v[24:25], v[103:104], -0.5
	v_mul_f64 v[28:29], v[103:104], s[4:5]
	v_fma_f64 v[131:132], v[143:144], s[0:1], v[70:71]
	v_fma_f64 v[70:71], v[143:144], s[4:5], v[70:71]
	;; [unrolled: 1-line block ×3, first 2 shown]
	v_fma_f64 v[78:79], v[121:122], 0.5, v[119:120]
	v_fma_f64 v[58:59], v[129:130], s[0:1], v[105:106]
	v_fma_f64 v[74:75], v[129:130], -0.5, v[117:118]
	v_fma_f64 v[46:47], v[171:172], s[4:5], v[54:55]
	v_fma_f64 v[54:55], v[171:172], s[0:1], v[54:55]
	global_store_dwordx4 v[227:228], v[36:39], off offset:256
	global_store_dwordx4 v[233:234], v[32:35], off
	v_fma_f64 v[103:104], v[48:49], s[0:1], v[0:1]
	v_fma_f64 v[105:106], v[44:45], s[0:1], v[2:3]
	v_fma_f64 v[109:110], v[48:49], -0.5, v[4:5]
	v_fma_f64 v[111:112], v[44:45], 0.5, v[6:7]
	v_fma_f64 v[36:37], v[52:53], s[0:1], v[12:13]
	v_fma_f64 v[44:45], v[42:43], s[0:1], v[14:15]
	v_fma_f64 v[48:49], v[52:53], -0.5, v[56:57]
	v_fma_f64 v[52:53], v[42:43], 0.5, v[60:61]
	v_fma_f64 v[56:57], v[40:41], s[0:1], v[16:17]
	v_fma_f64 v[60:61], v[50:51], s[0:1], v[18:19]
	v_fma_f64 v[117:118], v[50:51], 0.5, v[22:23]
	v_fma_f64 v[20:21], v[40:41], -0.5, v[20:21]
	v_fma_f64 v[119:120], v[99:100], s[0:1], v[26:27]
	v_fma_f64 v[99:100], v[99:100], 0.5, v[30:31]
	v_fma_f64 v[24:25], v[97:98], s[0:1], v[24:25]
	v_fma_f64 v[97:98], v[97:98], -0.5, v[28:29]
	v_add_f64 v[18:19], v[88:89], v[72:73]
	v_add_f64 v[16:17], v[70:71], v[78:79]
	;; [unrolled: 1-line block ×4, first 2 shown]
	v_add_f64 v[6:7], v[88:89], -v[72:73]
	v_add_f64 v[4:5], v[70:71], -v[78:79]
	;; [unrolled: 1-line block ×4, first 2 shown]
	v_add_co_u32 v113, vcc_lo, 0x1000, v227
	v_add_f64 v[30:31], v[46:47], -v[36:37]
	v_add_f64 v[42:43], v[54:55], v[44:45]
	v_add_f64 v[38:39], v[46:47], v[36:37]
	;; [unrolled: 1-line block ×4, first 2 shown]
	v_add_f64 v[34:35], v[54:55], -v[44:45]
	v_add_f64 v[32:33], v[68:69], -v[52:53]
	;; [unrolled: 1-line block ×4, first 2 shown]
	v_add_f64 v[54:55], v[62:63], v[56:57]
	v_add_f64 v[58:59], v[80:81], v[60:61]
	;; [unrolled: 1-line block ×4, first 2 shown]
	v_add_f64 v[50:51], v[80:81], -v[60:61]
	v_add_f64 v[48:49], v[66:67], -v[117:118]
	;; [unrolled: 1-line block ×3, first 2 shown]
	v_add_f64 v[76:77], v[107:108], v[119:120]
	v_add_f64 v[74:75], v[115:116], v[99:100]
	;; [unrolled: 1-line block ×4, first 2 shown]
	v_add_f64 v[68:69], v[107:108], -v[119:120]
	v_add_f64 v[66:67], v[115:116], -v[99:100]
	v_add_f64 v[22:23], v[84:85], -v[103:104]
	v_add_f64 v[62:63], v[95:96], -v[24:25]
	v_add_f64 v[60:61], v[141:142], -v[97:98]
	v_add_f64 v[80:81], v[84:85], v[103:104]
	v_add_f64 v[84:85], v[135:136], v[105:106]
	;; [unrolled: 1-line block ×4, first 2 shown]
	v_add_co_ci_u32_e32 v114, vcc_lo, 0, v228, vcc_lo
	v_add_co_u32 v157, vcc_lo, 0x1800, v227
	v_add_f64 v[26:27], v[135:136], -v[105:106]
	v_add_f64 v[24:25], v[139:140], -v[111:112]
	;; [unrolled: 1-line block ×3, first 2 shown]
	v_add_co_ci_u32_e32 v158, vcc_lo, 0, v228, vcc_lo
	global_store_dwordx4 v[227:228], v[16:19], off offset:1280
	global_store_dwordx4 v[90:91], v[12:15], off offset:512
	;; [unrolled: 1-line block ×4, first 2 shown]
	global_store_dwordx4 v[86:87], v[40:43], off
	global_store_dwordx4 v[93:94], v[36:39], off
	;; [unrolled: 1-line block ×4, first 2 shown]
	global_store_dwordx4 v[227:228], v[56:59], off offset:1792
	global_store_dwordx4 v[182:183], v[52:55], off
	global_store_dwordx4 v[239:240], v[48:51], off
	;; [unrolled: 1-line block ×3, first 2 shown]
	global_store_dwordx4 v[227:228], v[74:77], off offset:1536
	global_store_dwordx4 v[231:232], v[70:73], off
	global_store_dwordx4 v[235:236], v[66:69], off
	;; [unrolled: 1-line block ×3, first 2 shown]
	v_add_co_u32 v0, vcc_lo, v64, v248
	v_or_b32_e32 v4, 0x1300, v204
	v_add_co_ci_u32_e32 v1, vcc_lo, 0, v65, vcc_lo
	v_add_co_u32 v2, vcc_lo, v64, v249
	v_or_b32_e32 v6, 0x1800, v204
	v_add_co_ci_u32_e32 v3, vcc_lo, 0, v65, vcc_lo
	;; [unrolled: 3-line block ×3, first 2 shown]
	v_add_co_u32 v6, vcc_lo, v64, v6
	v_add_co_ci_u32_e32 v7, vcc_lo, 0, v65, vcc_lo
	v_add_co_u32 v12, vcc_lo, v64, v12
	v_add_co_ci_u32_e32 v13, vcc_lo, 0, v65, vcc_lo
	global_store_dwordx4 v[0:1], v[82:85], off
	global_store_dwordx4 v[2:3], v[78:81], off
	global_store_dwordx4 v[4:5], v[8:11], off
	global_store_dwordx4 v[6:7], v[24:27], off
	global_store_dwordx4 v[12:13], v[20:23], off
.LBB0_23:
	s_endpgm
	.section	.rodata,"a",@progbits
	.p2align	6, 0x0
	.amdhsa_kernel fft_rtc_back_len480_factors_10_8_6_wgs_64_tpt_16_halfLds_dp_ip_CI_unitstride_sbrr_dirReg
		.amdhsa_group_segment_fixed_size 0
		.amdhsa_private_segment_fixed_size 0
		.amdhsa_kernarg_size 88
		.amdhsa_user_sgpr_count 6
		.amdhsa_user_sgpr_private_segment_buffer 1
		.amdhsa_user_sgpr_dispatch_ptr 0
		.amdhsa_user_sgpr_queue_ptr 0
		.amdhsa_user_sgpr_kernarg_segment_ptr 1
		.amdhsa_user_sgpr_dispatch_id 0
		.amdhsa_user_sgpr_flat_scratch_init 0
		.amdhsa_user_sgpr_private_segment_size 0
		.amdhsa_wavefront_size32 1
		.amdhsa_uses_dynamic_stack 0
		.amdhsa_system_sgpr_private_segment_wavefront_offset 0
		.amdhsa_system_sgpr_workgroup_id_x 1
		.amdhsa_system_sgpr_workgroup_id_y 0
		.amdhsa_system_sgpr_workgroup_id_z 0
		.amdhsa_system_sgpr_workgroup_info 0
		.amdhsa_system_vgpr_workitem_id 0
		.amdhsa_next_free_vgpr 250
		.amdhsa_next_free_sgpr 21
		.amdhsa_reserve_vcc 1
		.amdhsa_reserve_flat_scratch 0
		.amdhsa_float_round_mode_32 0
		.amdhsa_float_round_mode_16_64 0
		.amdhsa_float_denorm_mode_32 3
		.amdhsa_float_denorm_mode_16_64 3
		.amdhsa_dx10_clamp 1
		.amdhsa_ieee_mode 1
		.amdhsa_fp16_overflow 0
		.amdhsa_workgroup_processor_mode 1
		.amdhsa_memory_ordered 1
		.amdhsa_forward_progress 0
		.amdhsa_shared_vgpr_count 0
		.amdhsa_exception_fp_ieee_invalid_op 0
		.amdhsa_exception_fp_denorm_src 0
		.amdhsa_exception_fp_ieee_div_zero 0
		.amdhsa_exception_fp_ieee_overflow 0
		.amdhsa_exception_fp_ieee_underflow 0
		.amdhsa_exception_fp_ieee_inexact 0
		.amdhsa_exception_int_div_zero 0
	.end_amdhsa_kernel
	.text
.Lfunc_end0:
	.size	fft_rtc_back_len480_factors_10_8_6_wgs_64_tpt_16_halfLds_dp_ip_CI_unitstride_sbrr_dirReg, .Lfunc_end0-fft_rtc_back_len480_factors_10_8_6_wgs_64_tpt_16_halfLds_dp_ip_CI_unitstride_sbrr_dirReg
                                        ; -- End function
	.section	.AMDGPU.csdata,"",@progbits
; Kernel info:
; codeLenInByte = 14512
; NumSgprs: 23
; NumVgprs: 250
; ScratchSize: 0
; MemoryBound: 1
; FloatMode: 240
; IeeeMode: 1
; LDSByteSize: 0 bytes/workgroup (compile time only)
; SGPRBlocks: 2
; VGPRBlocks: 31
; NumSGPRsForWavesPerEU: 23
; NumVGPRsForWavesPerEU: 250
; Occupancy: 4
; WaveLimiterHint : 1
; COMPUTE_PGM_RSRC2:SCRATCH_EN: 0
; COMPUTE_PGM_RSRC2:USER_SGPR: 6
; COMPUTE_PGM_RSRC2:TRAP_HANDLER: 0
; COMPUTE_PGM_RSRC2:TGID_X_EN: 1
; COMPUTE_PGM_RSRC2:TGID_Y_EN: 0
; COMPUTE_PGM_RSRC2:TGID_Z_EN: 0
; COMPUTE_PGM_RSRC2:TIDIG_COMP_CNT: 0
	.text
	.p2alignl 6, 3214868480
	.fill 48, 4, 3214868480
	.type	__hip_cuid_fc250f70b1c785fa,@object ; @__hip_cuid_fc250f70b1c785fa
	.section	.bss,"aw",@nobits
	.globl	__hip_cuid_fc250f70b1c785fa
__hip_cuid_fc250f70b1c785fa:
	.byte	0                               ; 0x0
	.size	__hip_cuid_fc250f70b1c785fa, 1

	.ident	"AMD clang version 19.0.0git (https://github.com/RadeonOpenCompute/llvm-project roc-6.4.0 25133 c7fe45cf4b819c5991fe208aaa96edf142730f1d)"
	.section	".note.GNU-stack","",@progbits
	.addrsig
	.addrsig_sym __hip_cuid_fc250f70b1c785fa
	.amdgpu_metadata
---
amdhsa.kernels:
  - .args:
      - .actual_access:  read_only
        .address_space:  global
        .offset:         0
        .size:           8
        .value_kind:     global_buffer
      - .offset:         8
        .size:           8
        .value_kind:     by_value
      - .actual_access:  read_only
        .address_space:  global
        .offset:         16
        .size:           8
        .value_kind:     global_buffer
      - .actual_access:  read_only
        .address_space:  global
        .offset:         24
        .size:           8
        .value_kind:     global_buffer
      - .offset:         32
        .size:           8
        .value_kind:     by_value
      - .actual_access:  read_only
        .address_space:  global
        .offset:         40
        .size:           8
        .value_kind:     global_buffer
      - .actual_access:  read_only
        .address_space:  global
        .offset:         48
        .size:           8
        .value_kind:     global_buffer
      - .offset:         56
        .size:           4
        .value_kind:     by_value
      - .actual_access:  read_only
        .address_space:  global
        .offset:         64
        .size:           8
        .value_kind:     global_buffer
      - .actual_access:  read_only
        .address_space:  global
        .offset:         72
        .size:           8
        .value_kind:     global_buffer
      - .address_space:  global
        .offset:         80
        .size:           8
        .value_kind:     global_buffer
    .group_segment_fixed_size: 0
    .kernarg_segment_align: 8
    .kernarg_segment_size: 88
    .language:       OpenCL C
    .language_version:
      - 2
      - 0
    .max_flat_workgroup_size: 64
    .name:           fft_rtc_back_len480_factors_10_8_6_wgs_64_tpt_16_halfLds_dp_ip_CI_unitstride_sbrr_dirReg
    .private_segment_fixed_size: 0
    .sgpr_count:     23
    .sgpr_spill_count: 0
    .symbol:         fft_rtc_back_len480_factors_10_8_6_wgs_64_tpt_16_halfLds_dp_ip_CI_unitstride_sbrr_dirReg.kd
    .uniform_work_group_size: 1
    .uses_dynamic_stack: false
    .vgpr_count:     250
    .vgpr_spill_count: 0
    .wavefront_size: 32
    .workgroup_processor_mode: 1
amdhsa.target:   amdgcn-amd-amdhsa--gfx1030
amdhsa.version:
  - 1
  - 2
...

	.end_amdgpu_metadata
